;; amdgpu-corpus repo=ROCm/rocFFT kind=compiled arch=gfx1201 opt=O3
	.text
	.amdgcn_target "amdgcn-amd-amdhsa--gfx1201"
	.amdhsa_code_object_version 6
	.protected	bluestein_single_back_len1573_dim1_half_op_CI_CI ; -- Begin function bluestein_single_back_len1573_dim1_half_op_CI_CI
	.globl	bluestein_single_back_len1573_dim1_half_op_CI_CI
	.p2align	8
	.type	bluestein_single_back_len1573_dim1_half_op_CI_CI,@function
bluestein_single_back_len1573_dim1_half_op_CI_CI: ; @bluestein_single_back_len1573_dim1_half_op_CI_CI
; %bb.0:
	s_load_b128 s[8:11], s[0:1], 0x28
	v_mul_u32_u24_e32 v1, 0x1cb, v0
	s_mov_b32 s2, exec_lo
	v_mov_b32_e32 v17, 0
	s_delay_alu instid0(VALU_DEP_2) | instskip(NEXT) | instid1(VALU_DEP_1)
	v_lshrrev_b32_e32 v1, 16, v1
	v_add_nc_u32_e32 v16, ttmp9, v1
	s_wait_kmcnt 0x0
	s_delay_alu instid0(VALU_DEP_1)
	v_cmpx_gt_u64_e64 s[8:9], v[16:17]
	s_cbranch_execz .LBB0_15
; %bb.1:
	s_clause 0x1
	s_load_b64 s[20:21], s[0:1], 0x0
	s_load_b64 s[8:9], s[0:1], 0x38
	v_mul_lo_u16 v1, 0x8f, v1
	s_delay_alu instid0(VALU_DEP_1) | instskip(NEXT) | instid1(VALU_DEP_1)
	v_sub_nc_u16 v0, v0, v1
	v_and_b32_e32 v34, 0xffff, v0
	v_cmp_gt_u16_e32 vcc_lo, 0x79, v0
	s_delay_alu instid0(VALU_DEP_2)
	v_lshlrev_b32_e32 v33, 2, v34
	s_and_saveexec_b32 s3, vcc_lo
	s_cbranch_execz .LBB0_3
; %bb.2:
	s_load_b64 s[4:5], s[0:1], 0x18
	s_delay_alu instid0(VALU_DEP_1)
	v_add_nc_u32_e32 v29, 0xa00, v33
	s_wait_kmcnt 0x0
	s_load_b128 s[4:7], s[4:5], 0x0
	s_wait_kmcnt 0x0
	v_mad_co_u64_u32 v[0:1], null, s6, v16, 0
	v_mad_co_u64_u32 v[2:3], null, s4, v34, 0
	s_delay_alu instid0(VALU_DEP_1) | instskip(NEXT) | instid1(VALU_DEP_1)
	v_mad_co_u64_u32 v[4:5], null, s7, v16, v[1:2]
	v_mad_co_u64_u32 v[5:6], null, s5, v34, v[3:4]
	v_mov_b32_e32 v1, v4
	s_mul_u64 s[4:5], s[4:5], 0x1e4
	s_delay_alu instid0(VALU_DEP_1) | instskip(NEXT) | instid1(VALU_DEP_3)
	v_lshlrev_b64_e32 v[0:1], 2, v[0:1]
	v_mov_b32_e32 v3, v5
	s_clause 0x7
	global_load_b32 v4, v33, s[20:21]
	global_load_b32 v5, v33, s[20:21] offset:484
	global_load_b32 v6, v33, s[20:21] offset:968
	;; [unrolled: 1-line block ×7, first 2 shown]
	v_add_co_u32 v0, s2, s10, v0
	v_lshlrev_b64_e32 v[2:3], 2, v[2:3]
	v_add_co_ci_u32_e64 v1, s2, s11, v1, s2
	s_delay_alu instid0(VALU_DEP_2) | instskip(SKIP_1) | instid1(VALU_DEP_2)
	v_add_co_u32 v0, s2, v0, v2
	s_wait_alu 0xf1ff
	v_add_co_ci_u32_e64 v1, s2, v1, v3, s2
	global_load_b32 v12, v[0:1], off
	s_wait_alu 0xfffe
	v_add_co_u32 v0, s2, v0, s4
	s_wait_alu 0xf1ff
	v_add_co_ci_u32_e64 v1, s2, s5, v1, s2
	s_clause 0x3
	global_load_b32 v13, v33, s[20:21] offset:3872
	global_load_b32 v14, v33, s[20:21] offset:4356
	;; [unrolled: 1-line block ×4, first 2 shown]
	global_load_b32 v18, v[0:1], off
	v_add_co_u32 v0, s2, v0, s4
	s_wait_alu 0xf1ff
	v_add_co_ci_u32_e64 v1, s2, s5, v1, s2
	global_load_b32 v19, v33, s[20:21] offset:5808
	v_add_co_u32 v2, s2, v0, s4
	s_wait_alu 0xf1ff
	v_add_co_ci_u32_e64 v3, s2, s5, v1, s2
	global_load_b32 v20, v[0:1], off
	v_add_co_u32 v0, s2, v2, s4
	s_wait_alu 0xf1ff
	v_add_co_ci_u32_e64 v1, s2, s5, v3, s2
	s_clause 0x1
	global_load_b32 v21, v[2:3], off
	global_load_b32 v22, v[0:1], off
	v_add_co_u32 v0, s2, v0, s4
	s_wait_alu 0xf1ff
	v_add_co_ci_u32_e64 v1, s2, s5, v1, s2
	s_delay_alu instid0(VALU_DEP_2) | instskip(SKIP_1) | instid1(VALU_DEP_2)
	v_add_co_u32 v2, s2, v0, s4
	s_wait_alu 0xf1ff
	v_add_co_ci_u32_e64 v3, s2, s5, v1, s2
	global_load_b32 v23, v[0:1], off
	v_add_co_u32 v0, s2, v2, s4
	s_wait_alu 0xf1ff
	v_add_co_ci_u32_e64 v1, s2, s5, v3, s2
	global_load_b32 v24, v[2:3], off
	global_load_b32 v25, v[0:1], off
	v_add_co_u32 v0, s2, v0, s4
	s_wait_alu 0xf1ff
	v_add_co_ci_u32_e64 v1, s2, s5, v1, s2
	s_delay_alu instid0(VALU_DEP_2) | instskip(SKIP_1) | instid1(VALU_DEP_2)
	v_add_co_u32 v2, s2, v0, s4
	s_wait_alu 0xf1ff
	v_add_co_ci_u32_e64 v3, s2, s5, v1, s2
	global_load_b32 v26, v[0:1], off
	v_add_co_u32 v0, s2, v2, s4
	s_wait_alu 0xf1ff
	v_add_co_ci_u32_e64 v1, s2, s5, v3, s2
	global_load_b32 v27, v[2:3], off
	;; [unrolled: 4-line block ×4, first 2 shown]
	global_load_b32 v0, v[0:1], off
	v_add_nc_u32_e32 v1, 0x200, v33
	v_add_nc_u32_e32 v3, 0x600, v33
	s_wait_loadcnt 0x19
	v_lshrrev_b32_e32 v30, 16, v4
	s_wait_loadcnt 0x18
	v_lshrrev_b32_e32 v31, 16, v5
	;; [unrolled: 2-line block ×9, first 2 shown]
	v_mul_f16_e32 v45, v30, v12
	s_wait_loadcnt 0x10
	v_lshrrev_b32_e32 v40, 16, v13
	s_wait_loadcnt 0xf
	v_lshrrev_b32_e32 v42, 16, v14
	;; [unrolled: 2-line block ×3, first 2 shown]
	v_mul_f16_e32 v30, v30, v41
	s_wait_loadcnt 0xc
	v_lshrrev_b32_e32 v46, 16, v18
	v_mul_f16_e32 v48, v31, v18
	v_fma_f16 v41, v4, v41, -v45
	v_lshrrev_b32_e32 v44, 16, v17
	v_fmac_f16_e32 v30, v4, v12
	v_mul_f16_e32 v4, v31, v46
	v_fma_f16 v31, v5, v46, -v48
	s_wait_loadcnt 0xb
	v_lshrrev_b32_e32 v47, 16, v19
	s_wait_loadcnt 0xa
	v_lshrrev_b32_e32 v12, 16, v20
	v_mul_f16_e32 v45, v32, v20
	v_fmac_f16_e32 v4, v5, v18
	v_pack_b32_f16 v30, v30, v41
	s_delay_alu instid0(VALU_DEP_4)
	v_mul_f16_e32 v5, v32, v12
	s_wait_loadcnt 0x9
	v_lshrrev_b32_e32 v18, 16, v21
	v_mul_f16_e32 v32, v35, v21
	v_fma_f16 v12, v6, v12, -v45
	v_pack_b32_f16 v4, v4, v31
	v_fmac_f16_e32 v5, v6, v20
	v_mul_f16_e32 v6, v35, v18
	s_wait_loadcnt 0x8
	v_lshrrev_b32_e32 v20, 16, v22
	v_fma_f16 v18, v7, v18, -v32
	v_mul_f16_e32 v31, v36, v22
	ds_store_2addr_b32 v33, v30, v4 offset1:121
	v_pack_b32_f16 v4, v5, v12
	v_fmac_f16_e32 v6, v7, v21
	v_mul_f16_e32 v5, v36, v20
	s_wait_loadcnt 0x7
	v_lshrrev_b32_e32 v7, 16, v23
	v_mul_f16_e32 v12, v37, v23
	v_fma_f16 v20, v8, v20, -v31
	v_pack_b32_f16 v6, v6, v18
	v_fmac_f16_e32 v5, v8, v22
	v_mul_f16_e32 v8, v37, v7
	v_fma_f16 v7, v9, v7, -v12
	s_wait_loadcnt 0x6
	v_lshrrev_b32_e32 v12, 16, v24
	ds_store_2addr_b32 v1, v4, v6 offset0:114 offset1:235
	v_pack_b32_f16 v1, v5, v20
	v_fmac_f16_e32 v8, v9, v23
	s_wait_loadcnt 0x5
	v_lshrrev_b32_e32 v5, 16, v25
	v_mul_f16_e32 v18, v38, v24
	v_mul_f16_e32 v4, v38, v12
	;; [unrolled: 1-line block ×3, first 2 shown]
	v_pack_b32_f16 v7, v8, v7
	v_mul_f16_e32 v8, v39, v5
	v_fma_f16 v6, v10, v12, -v18
	v_fmac_f16_e32 v4, v10, v24
	s_wait_loadcnt 0x4
	v_lshrrev_b32_e32 v10, 16, v26
	v_fma_f16 v5, v11, v5, -v9
	v_mul_f16_e32 v9, v40, v26
	v_fmac_f16_e32 v8, v11, v25
	s_wait_loadcnt 0x3
	v_lshrrev_b32_e32 v11, 16, v27
	v_pack_b32_f16 v4, v4, v6
	v_mul_f16_e32 v6, v40, v10
	v_fma_f16 v9, v13, v10, -v9
	v_mul_f16_e32 v10, v42, v27
	v_pack_b32_f16 v5, v8, v5
	v_mul_f16_e32 v8, v42, v11
	v_fmac_f16_e32 v6, v13, v26
	s_wait_loadcnt 0x2
	v_lshrrev_b32_e32 v12, 16, v28
	v_fma_f16 v10, v14, v11, -v10
	v_mul_f16_e32 v11, v43, v28
	v_fmac_f16_e32 v8, v14, v27
	s_wait_loadcnt 0x1
	v_lshrrev_b32_e32 v13, 16, v2
	s_wait_loadcnt 0x0
	v_lshrrev_b32_e32 v14, 16, v0
	v_pack_b32_f16 v6, v6, v9
	v_mul_f16_e32 v9, v43, v12
	v_fma_f16 v11, v15, v12, -v11
	v_mul_f16_e32 v12, v44, v2
	v_pack_b32_f16 v8, v8, v10
	v_mul_f16_e32 v10, v44, v13
	v_mul_f16_e32 v18, v47, v14
	v_mul_f16_e32 v20, v47, v0
	v_fmac_f16_e32 v9, v15, v28
	v_fma_f16 v12, v17, v13, -v12
	v_fmac_f16_e32 v10, v17, v2
	v_add_nc_u32_e32 v2, 0xe00, v33
	v_fmac_f16_e32 v18, v19, v0
	v_fma_f16 v0, v19, v14, -v20
	v_pack_b32_f16 v9, v9, v11
	v_pack_b32_f16 v10, v10, v12
	v_add_nc_u32_e32 v11, 0x1200, v33
	s_delay_alu instid0(VALU_DEP_4)
	v_pack_b32_f16 v0, v18, v0
	ds_store_2addr_b32 v3, v1, v7 offset0:100 offset1:221
	ds_store_2addr_b32 v29, v4, v5 offset0:86 offset1:207
	;; [unrolled: 1-line block ×4, first 2 shown]
	ds_store_b32 v33, v0 offset:5808
.LBB0_3:
	s_or_b32 exec_lo, exec_lo, s3
	s_clause 0x1
	s_load_b64 s[2:3], s[0:1], 0x20
	s_load_b64 s[4:5], s[0:1], 0x8
	global_wb scope:SCOPE_SE
	s_wait_dscnt 0x0
	s_wait_kmcnt 0x0
	s_barrier_signal -1
	s_barrier_wait -1
	global_inv scope:SCOPE_SE
                                        ; implicit-def: $vgpr0
                                        ; implicit-def: $vgpr7
                                        ; implicit-def: $vgpr20
                                        ; implicit-def: $vgpr4
                                        ; implicit-def: $vgpr19
                                        ; implicit-def: $vgpr17
                                        ; implicit-def: $vgpr2
                                        ; implicit-def: $vgpr15
                                        ; implicit-def: $vgpr14
                                        ; implicit-def: $vgpr12
                                        ; implicit-def: $vgpr13
                                        ; implicit-def: $vgpr21
                                        ; implicit-def: $vgpr9
                                        ; implicit-def: $vgpr22
                                        ; implicit-def: $vgpr23
                                        ; implicit-def: $vgpr11
                                        ; implicit-def: $vgpr24
                                        ; implicit-def: $vgpr25
                                        ; implicit-def: $vgpr26
	s_and_saveexec_b32 s0, vcc_lo
	s_cbranch_execz .LBB0_5
; %bb.4:
	v_add_nc_u32_e32 v2, 0x200, v33
	v_add_nc_u32_e32 v3, 0x600, v33
	;; [unrolled: 1-line block ×3, first 2 shown]
	ds_load_2addr_b32 v[0:1], v33 offset1:121
	ds_load_2addr_b32 v[10:11], v2 offset0:114 offset1:235
	v_add_nc_u32_e32 v2, 0xe00, v33
	ds_load_2addr_b32 v[8:9], v3 offset0:100 offset1:221
	v_add_nc_u32_e32 v3, 0x1200, v33
	ds_load_2addr_b32 v[6:7], v4 offset0:86 offset1:207
	ds_load_2addr_b32 v[4:5], v2 offset0:72 offset1:193
	;; [unrolled: 1-line block ×3, first 2 shown]
	ds_load_b32 v12, v33 offset:5808
	s_wait_dscnt 0x6
	v_lshrrev_b32_e32 v26, 16, v1
	s_wait_dscnt 0x5
	v_lshrrev_b32_e32 v25, 16, v10
	v_lshrrev_b32_e32 v24, 16, v11
	s_wait_dscnt 0x4
	v_lshrrev_b32_e32 v23, 16, v8
	;; [unrolled: 3-line block ×6, first 2 shown]
.LBB0_5:
	s_wait_alu 0xfffe
	s_or_b32 exec_lo, exec_lo, s0
	s_delay_alu instid0(VALU_DEP_1)
	v_sub_f16_e32 v68, v26, v13
	v_sub_f16_e32 v78, v1, v12
	v_add_f16_e32 v27, v12, v1
	v_add_f16_e32 v29, v13, v26
	v_sub_f16_e32 v69, v25, v14
	v_mul_f16_e32 v47, 0xb770, v68
	v_mul_f16_e32 v50, 0xb770, v78
	v_lshrrev_b32_e32 v28, 16, v0
	v_add_f16_e32 v30, v3, v10
	v_mul_f16_e32 v59, 0xba95, v68
	v_fmamk_f16 v18, v27, 0x3b15, v47
	v_fma_f16 v31, v29, 0x3b15, -v50
	v_mul_f16_e32 v64, 0xba95, v78
	v_mul_f16_e32 v49, 0xba95, v69
	v_sub_f16_e32 v79, v10, v3
	v_add_f16_e32 v18, v18, v0
	v_add_f16_e32 v35, v31, v28
	v_fmamk_f16 v32, v27, 0x388b, v59
	v_fma_f16 v36, v29, 0x388b, -v64
	v_fmamk_f16 v37, v30, 0x388b, v49
	v_add_f16_e32 v31, v14, v25
	v_mul_f16_e32 v53, 0xba95, v79
	v_sub_f16_e32 v71, v24, v15
	v_mul_f16_e32 v62, 0xbb7b, v69
	v_mul_f16_e32 v72, 0xbb7b, v79
	v_sub_f16_e32 v80, v11, v2
	v_add_f16_e32 v38, v32, v0
	v_add_f16_e32 v36, v36, v28
	;; [unrolled: 1-line block ×3, first 2 shown]
	v_fma_f16 v37, v31, 0x388b, -v53
	v_add_f16_e32 v32, v2, v11
	v_mul_f16_e32 v51, 0xbbf1, v71
	v_fmamk_f16 v40, v30, 0xb5ac, v62
	v_fma_f16 v41, v31, 0xb5ac, -v72
	v_add_f16_e32 v39, v15, v24
	v_mul_f16_e32 v55, 0xbbf1, v80
	v_sub_f16_e32 v81, v8, v5
	v_fmamk_f16 v42, v32, 0x2fb7, v51
	v_add_f16_e32 v35, v37, v35
	v_add_f16_e32 v37, v40, v38
	;; [unrolled: 1-line block ×3, first 2 shown]
	v_fma_f16 v38, v39, 0x2fb7, -v55
	v_sub_f16_e32 v73, v23, v17
	v_mul_f16_e32 v65, 0xb3a8, v71
	v_mul_f16_e32 v75, 0xb3a8, v80
	v_add_f16_e32 v41, v17, v23
	v_mul_f16_e32 v56, 0xbb7b, v81
	v_add_f16_e32 v18, v42, v18
	v_add_f16_e32 v40, v5, v8
	v_mul_f16_e32 v52, 0xbb7b, v73
	v_fmamk_f16 v42, v32, 0xbbc4, v65
	v_fma_f16 v43, v39, 0xbbc4, -v75
	v_add_f16_e32 v35, v38, v35
	v_fma_f16 v38, v41, 0xb5ac, -v56
	v_mul_f16_e32 v66, 0x394e, v73
	v_sub_f16_e32 v74, v22, v19
	v_sub_f16_e32 v82, v9, v4
	v_fmamk_f16 v44, v40, 0xb5ac, v52
	v_add_f16_e32 v37, v42, v37
	v_add_f16_e32 v36, v43, v36
	;; [unrolled: 1-line block ×3, first 2 shown]
	v_mul_f16_e32 v76, 0x394e, v81
	v_fmamk_f16 v38, v40, 0xb9fd, v66
	v_add_f16_e32 v42, v4, v9
	v_mul_f16_e32 v54, 0xb94e, v74
	v_add_f16_e32 v43, v19, v22
	v_mul_f16_e32 v60, 0xb94e, v82
	v_mul_f16_e32 v67, 0x3bf1, v74
	v_add_f16_e32 v18, v44, v18
	v_fma_f16 v44, v41, 0xb9fd, -v76
	v_fmamk_f16 v45, v42, 0xb9fd, v54
	v_add_f16_e32 v37, v38, v37
	v_fma_f16 v38, v43, 0xb9fd, -v60
	v_fmamk_f16 v46, v42, 0x2fb7, v67
	v_mul_f16_e32 v77, 0x3bf1, v82
	v_sub_f16_e32 v58, v21, v20
	v_sub_f16_e32 v83, v6, v7
	v_add_f16_e32 v36, v44, v36
	v_add_f16_e32 v18, v45, v18
	;; [unrolled: 1-line block ×4, first 2 shown]
	v_fma_f16 v37, v43, 0x2fb7, -v77
	v_add_f16_e32 v44, v7, v6
	v_add_f16_e32 v45, v20, v21
	v_mul_f16_e32 v57, 0xb3a8, v58
	v_mul_f16_e32 v61, 0xb3a8, v83
	;; [unrolled: 1-line block ×4, first 2 shown]
	v_add_f16_e32 v46, v37, v36
	v_fmamk_f16 v36, v44, 0xbbc4, v57
	v_fma_f16 v37, v45, 0xbbc4, -v61
	v_fmamk_f16 v48, v44, 0x3b15, v63
	v_fma_f16 v84, v45, 0x3b15, -v70
	global_wb scope:SCOPE_SE
	v_add_f16_e32 v36, v36, v18
	v_add_f16_e32 v37, v37, v35
	;; [unrolled: 1-line block ×4, first 2 shown]
	v_mul_lo_u16 v35, v34, 13
	s_barrier_signal -1
	s_barrier_wait -1
	global_inv scope:SCOPE_SE
	s_and_saveexec_b32 s0, vcc_lo
	s_cbranch_execz .LBB0_7
; %bb.6:
	v_mul_f16_e32 v84, 0xb3a8, v78
	v_mul_f16_e32 v85, 0xb3a8, v68
	;; [unrolled: 1-line block ×5, first 2 shown]
	v_fmamk_f16 v46, v29, 0xbbc4, v84
	v_fma_f16 v48, v27, 0xbbc4, -v85
	v_fmamk_f16 v90, v31, 0x3b15, v86
	v_fma_f16 v91, v30, 0x3b15, -v88
	v_mul_f16_e32 v89, 0xb94e, v71
	v_add_f16_e32 v46, v46, v28
	v_add_f16_e32 v48, v48, v0
	v_mul_f16_e32 v92, 0x3a95, v81
	v_fmamk_f16 v93, v39, 0xb9fd, v87
	v_fma_f16 v94, v32, 0xb9fd, -v89
	v_add_f16_e32 v46, v90, v46
	v_add_f16_e32 v48, v91, v48
	v_mul_f16_e32 v91, 0xb94e, v78
	v_mul_f16_e32 v90, 0x3a95, v73
	v_fmamk_f16 v95, v41, 0x388b, v92
	v_add_f16_e32 v46, v93, v46
	v_mul_f16_e32 v93, 0xbb7b, v82
	v_fmamk_f16 v96, v29, 0xb9fd, v91
	v_mul_f16_e32 v97, 0x3bf1, v79
	v_add_f16_e32 v48, v94, v48
	v_fma_f16 v94, v40, 0x388b, -v90
	v_add_f16_e32 v46, v95, v46
	v_fmamk_f16 v95, v43, 0xb5ac, v93
	v_mul_f16_e32 v98, 0xbb7b, v74
	v_add_f16_e32 v96, v96, v28
	v_fmamk_f16 v99, v31, 0x2fb7, v97
	v_mul_f16_e32 v100, 0xba95, v80
	v_add_f16_e32 v48, v94, v48
	v_fma_f16 v94, v42, 0xb5ac, -v98
	v_add_f16_e32 v46, v95, v46
	v_add_f16_e32 v95, v99, v96
	v_fmamk_f16 v96, v39, 0x388b, v100
	v_mul_f16_e32 v99, 0x33a8, v81
	v_add_f16_e32 v48, v94, v48
	v_mul_f16_e32 v94, 0x3bf1, v83
	v_mul_f16_e32 v102, 0x3770, v82
	v_add_f16_e32 v95, v96, v95
	v_fmamk_f16 v96, v41, 0xbbc4, v99
	v_mul_f16_e32 v101, 0x3bf1, v58
	v_fmamk_f16 v103, v45, 0x2fb7, v94
	v_mul_f16_e32 v104, 0xb94e, v68
	v_mul_f16_e32 v106, 0x3bf1, v69
	v_add_f16_e32 v95, v96, v95
	v_fmamk_f16 v96, v43, 0x3b15, v102
	v_fma_f16 v105, v44, 0x2fb7, -v101
	v_add_f16_e32 v46, v103, v46
	v_fma_f16 v103, v27, 0xb9fd, -v104
	v_mul_f16_e32 v107, 0xba95, v71
	v_add_f16_e32 v95, v96, v95
	v_mul_f16_e32 v96, 0xbb7b, v78
	v_add_f16_e32 v48, v105, v48
	v_add_f16_e32 v103, v103, v0
	v_fma_f16 v105, v30, 0x2fb7, -v106
	v_mul_f16_e32 v108, 0xbb7b, v83
	v_fmamk_f16 v109, v29, 0xb5ac, v96
	v_mul_f16_e32 v110, 0x394e, v79
	v_mul_f16_e32 v111, 0x33a8, v73
	v_add_f16_e32 v103, v105, v103
	v_fma_f16 v105, v32, 0x388b, -v107
	v_add_f16_e32 v109, v109, v28
	v_fmamk_f16 v112, v31, 0xb9fd, v110
	v_mul_f16_e32 v113, 0x3770, v80
	v_fmamk_f16 v114, v45, 0xb5ac, v108
	v_add_f16_e32 v103, v105, v103
	v_fma_f16 v105, v40, 0xbbc4, -v111
	v_add_f16_e32 v109, v112, v109
	v_fmamk_f16 v112, v39, 0x3b15, v113
	v_mul_f16_e32 v115, 0xbbf1, v81
	v_add_f16_e32 v95, v114, v95
	v_mul_f16_e32 v114, 0x3770, v74
	v_add_f16_e32 v103, v105, v103
	v_add_f16_e32 v105, v112, v109
	v_fmamk_f16 v109, v41, 0x2fb7, v115
	v_mul_f16_e32 v112, 0x33a8, v82
	v_fma_f16 v116, v42, 0x3b15, -v114
	v_mul_f16_e32 v117, 0xbb7b, v68
	v_mul_f16_e32 v119, 0x394e, v69
	v_add_f16_e32 v105, v109, v105
	v_fmamk_f16 v109, v43, 0xbbc4, v112
	v_add_f16_e32 v103, v116, v103
	v_fma_f16 v116, v27, 0xb5ac, -v117
	v_mul_f16_e32 v78, 0xbbf1, v78
	v_mul_f16_e32 v121, 0x3770, v71
	v_add_f16_e32 v105, v109, v105
	v_mul_f16_e32 v79, 0xb3a8, v79
	v_add_f16_e32 v109, v116, v0
	v_fma_f16 v116, v30, 0xb9fd, -v119
	v_fmamk_f16 v123, v29, 0x2fb7, v78
	v_mul_f16_e32 v124, 0xbbf1, v73
	v_fmamk_f16 v125, v31, 0xbbc4, v79
	v_mul_f16_e32 v80, 0x3b7b, v80
	v_add_f16_e32 v109, v116, v109
	v_fma_f16 v116, v32, 0x3b15, -v121
	v_add_f16_e32 v123, v123, v28
	v_mul_f16_e32 v118, 0xbb7b, v58
	v_mul_f16_e32 v126, 0x33a8, v74
	;; [unrolled: 1-line block ×3, first 2 shown]
	v_add_f16_e32 v109, v116, v109
	v_fma_f16 v116, v40, 0x2fb7, -v124
	v_add_f16_e32 v123, v125, v123
	v_fmamk_f16 v125, v39, 0xb5ac, v80
	v_fma_f16 v120, v44, 0xb5ac, -v118
	v_mul_f16_e32 v127, 0x3a95, v58
	v_add_f16_e32 v109, v116, v109
	v_fma_f16 v116, v42, 0xbbc4, -v126
	v_add_f16_e32 v123, v125, v123
	v_fmamk_f16 v125, v41, 0x3b15, v81
	v_mul_f16_e32 v82, 0xba95, v82
	v_add_f16_e32 v103, v120, v103
	v_add_f16_e32 v109, v116, v109
	v_fma_f16 v116, v44, 0x388b, -v127
	v_add_f16_e32 v123, v125, v123
	v_fmamk_f16 v125, v43, 0x388b, v82
	v_mul_f16_e32 v68, 0xbbf1, v68
	v_mul_f16_e32 v120, 0x388b, v29
	v_add_f16_e32 v109, v116, v109
	v_mul_f16_e32 v69, 0xb3a8, v69
	v_add_f16_e32 v116, v125, v123
	v_fma_f16 v123, v27, 0x2fb7, -v68
	v_mul_f16_e32 v125, 0xb5ac, v31
	v_add_f16_e32 v64, v64, v120
	v_mul_f16_e32 v71, 0x3b7b, v71
	v_mul_f16_e32 v73, 0x3770, v73
	v_add_f16_e32 v120, v123, v0
	v_fma_f16 v123, v30, 0xbbc4, -v69
	v_add_f16_e32 v72, v72, v125
	v_add_f16_e32 v64, v64, v28
	v_mul_f16_e32 v125, 0xbbc4, v39
	v_add_f16_e32 v26, v26, v28
	v_add_f16_e32 v120, v123, v120
	v_fma_f16 v123, v32, 0xb5ac, -v71
	v_add_f16_e32 v64, v72, v64
	v_add_f16_e32 v72, v75, v125
	v_mul_f16_e32 v75, 0x388b, v27
	v_mul_f16_e32 v125, 0xb5ac, v30
	v_add_f16_e32 v120, v123, v120
	v_mul_f16_e32 v123, 0xb9fd, v41
	v_add_f16_e32 v64, v72, v64
	v_sub_f16_e32 v59, v75, v59
	v_sub_f16_e32 v62, v125, v62
	v_fma_f16 v75, v40, 0x3b15, -v73
	v_add_f16_e32 v72, v76, v123
	v_mul_f16_e32 v76, 0xbbc4, v32
	v_add_f16_e32 v59, v59, v0
	v_add_f16_e32 v1, v1, v0
	;; [unrolled: 1-line block ×3, first 2 shown]
	v_mul_f16_e32 v120, 0x2fb7, v43
	v_sub_f16_e32 v65, v76, v65
	v_add_f16_e32 v59, v62, v59
	v_mul_f16_e32 v62, 0xba95, v74
	v_mul_f16_e32 v74, 0x3b15, v29
	v_mul_f16_e32 v76, 0xb9fd, v40
	v_add_f16_e32 v64, v72, v64
	v_add_f16_e32 v59, v65, v59
	v_mul_f16_e32 v65, 0x388b, v31
	v_add_f16_e32 v50, v50, v74
	v_sub_f16_e32 v66, v76, v66
	v_add_f16_e32 v72, v77, v120
	v_fma_f16 v77, v42, 0x388b, -v62
	v_add_f16_e32 v53, v53, v65
	v_add_f16_e32 v50, v50, v28
	v_mul_f16_e32 v65, 0x2fb7, v39
	v_add_f16_e32 v59, v66, v59
	v_mul_f16_e32 v66, 0x3b15, v27
	v_add_f16_e32 v64, v72, v64
	v_add_f16_e32 v50, v53, v50
	;; [unrolled: 1-line block ×3, first 2 shown]
	v_mul_f16_e32 v65, 0x388b, v30
	v_sub_f16_e32 v47, v66, v47
	v_mul_f16_e32 v72, 0x2fb7, v42
	v_mul_f16_e32 v66, 0xb5ac, v41
	v_add_f16_e32 v50, v53, v50
	v_sub_f16_e32 v49, v65, v49
	v_add_f16_e32 v47, v47, v0
	v_sub_f16_e32 v55, v72, v67
	v_add_f16_e32 v56, v56, v66
	v_mul_f16_e32 v65, 0x2fb7, v32
	v_add_f16_e32 v74, v77, v75
	v_add_f16_e32 v47, v49, v47
	v_mul_f16_e32 v49, 0xb9fd, v43
	v_add_f16_e32 v55, v55, v59
	v_sub_f16_e32 v51, v65, v51
	v_mul_f16_e32 v59, 0xb5ac, v40
	v_add_f16_e32 v50, v56, v50
	v_add_f16_e32 v49, v60, v49
	v_mul_f16_e32 v56, 0xb9fd, v42
	v_add_f16_e32 v47, v51, v47
	v_sub_f16_e32 v51, v59, v52
	v_mul_f16_e32 v65, 0x3b15, v44
	v_add_f16_e32 v49, v49, v50
	v_fma_f16 v50, v29, 0xbbc4, -v84
	v_sub_f16_e32 v54, v56, v54
	v_add_f16_e32 v47, v51, v47
	v_mul_f16_e32 v56, 0xb94e, v58
	v_fma_f16 v58, v31, 0x3b15, -v86
	v_add_f16_e32 v50, v50, v28
	v_sub_f16_e32 v52, v65, v63
	v_add_f16_e32 v47, v54, v47
	v_fma_f16 v54, v39, 0xb9fd, -v87
	v_mul_f16_e32 v59, 0xbbc4, v44
	v_add_f16_e32 v50, v58, v50
	v_add_f16_e32 v52, v52, v55
	v_fma_f16 v55, v29, 0xb9fd, -v91
	v_fma_f16 v60, v44, 0xb9fd, -v56
	v_sub_f16_e32 v57, v59, v57
	v_add_f16_e32 v50, v54, v50
	v_fma_f16 v54, v41, 0x388b, -v92
	v_add_f16_e32 v55, v55, v28
	v_fma_f16 v59, v29, 0xb5ac, -v96
	;; [unrolled: 2-line block ×4, first 2 shown]
	v_add_f16_e32 v58, v60, v74
	v_add_f16_e32 v59, v59, v28
	v_fma_f16 v60, v31, 0xb9fd, -v110
	v_add_f16_e32 v25, v25, v26
	v_add_f16_e32 v50, v54, v50
	v_fma_f16 v54, v45, 0x2fb7, -v94
	v_add_f16_e32 v1, v10, v1
	v_mul_f16_e32 v122, 0x3a95, v83
	v_fma_f16 v10, v43, 0xbbc4, -v112
	v_add_f16_e32 v24, v24, v25
	v_add_f16_e32 v50, v54, v50
	;; [unrolled: 1-line block ×3, first 2 shown]
	v_fma_f16 v55, v39, 0x388b, -v100
	v_add_f16_e32 v1, v11, v1
	v_fma_f16 v11, v45, 0x388b, -v122
	v_add_f16_e32 v23, v23, v24
	v_mul_f16_e32 v51, 0xbbc4, v45
	v_add_f16_e32 v54, v55, v54
	v_fma_f16 v55, v41, 0xbbc4, -v99
	v_add_f16_e32 v1, v8, v1
	v_fmac_f16_e32 v85, 0xbbc4, v27
	v_add_f16_e32 v51, v61, v51
	v_fmac_f16_e32 v104, 0xb9fd, v27
	v_add_f16_e32 v54, v55, v54
	v_fma_f16 v55, v43, 0x3b15, -v102
	v_add_f16_e32 v1, v9, v1
	v_fmac_f16_e32 v117, 0xb5ac, v27
	v_fmac_f16_e32 v68, 0x2fb7, v27
	v_add_f16_e32 v49, v51, v49
	v_add_f16_e32 v54, v55, v54
	v_fma_f16 v55, v45, 0xb5ac, -v108
	v_add_f16_e32 v1, v6, v1
	v_add_f16_e32 v51, v85, v0
	v_fmac_f16_e32 v88, 0x3b15, v30
	v_add_f16_e32 v57, v104, v0
	v_add_f16_e32 v54, v55, v54
	;; [unrolled: 1-line block ×3, first 2 shown]
	v_fma_f16 v59, v39, 0x3b15, -v113
	v_add_f16_e32 v1, v7, v1
	v_fmac_f16_e32 v106, 0x2fb7, v30
	v_add_f16_e32 v60, v117, v0
	v_fmac_f16_e32 v119, 0xb9fd, v30
	v_add_f16_e32 v55, v59, v55
	v_fma_f16 v59, v41, 0x2fb7, -v115
	v_add_f16_e32 v1, v4, v1
	v_add_f16_e32 v0, v68, v0
	v_fmac_f16_e32 v69, 0xbbc4, v30
	v_fma_f16 v4, v39, 0xb5ac, -v80
	v_add_f16_e32 v55, v59, v55
	v_add_f16_e32 v1, v5, v1
	;; [unrolled: 1-line block ×3, first 2 shown]
	v_fmac_f16_e32 v89, 0xb9fd, v32
	v_add_f16_e32 v57, v106, v57
	v_add_f16_e32 v10, v10, v55
	v_fmac_f16_e32 v107, 0x388b, v32
	v_add_f16_e32 v60, v119, v60
	v_fmac_f16_e32 v121, 0x3b15, v32
	v_add_f16_e32 v0, v69, v0
	v_add_f16_e32 v10, v11, v10
	;; [unrolled: 1-line block ×3, first 2 shown]
	v_fma_f16 v22, v29, 0x2fb7, -v78
	v_fmac_f16_e32 v71, 0xb5ac, v32
	v_fma_f16 v5, v41, 0x3b15, -v81
	v_add_f16_e32 v1, v2, v1
	v_add_f16_e32 v11, v21, v11
	;; [unrolled: 1-line block ×3, first 2 shown]
	v_fma_f16 v21, v31, 0xbbc4, -v79
	v_add_f16_e32 v51, v89, v51
	v_fmac_f16_e32 v90, 0x388b, v40
	v_add_f16_e32 v11, v20, v11
	v_add_f16_e32 v57, v107, v57
	;; [unrolled: 1-line block ×3, first 2 shown]
	v_fmac_f16_e32 v111, 0xbbc4, v40
	v_add_f16_e32 v26, v121, v60
	v_add_f16_e32 v7, v19, v11
	v_fmac_f16_e32 v124, 0x2fb7, v40
	v_add_f16_e32 v4, v4, v6
	v_add_f16_e32 v0, v71, v0
	;; [unrolled: 3-line block ×3, first 2 shown]
	v_add_f16_e32 v2, v5, v4
	v_mul_f16_e32 v53, 0x3b15, v45
	v_fma_f16 v128, 0x388b, v45, v122
	v_add_f16_e32 v6, v15, v7
	v_mul_f16_e32 v83, 0xb94e, v83
	v_add_f16_e32 v51, v90, v51
	v_fmac_f16_e32 v98, 0xb5ac, v42
	v_add_f16_e32 v57, v111, v57
	v_add_f16_e32 v5, v14, v6
	v_fmac_f16_e32 v114, 0x3b15, v42
	v_add_f16_e32 v25, v124, v26
	v_fmac_f16_e32 v126, 0xbbc4, v42
	v_fma_f16 v4, v43, 0x388b, -v82
	v_add_f16_e32 v0, v73, v0
	v_fmac_f16_e32 v62, 0x388b, v42
	v_add_f16_e32 v3, v13, v5
	v_add_f16_e32 v1, v12, v1
	;; [unrolled: 1-line block ×3, first 2 shown]
	v_add_f16_e64 v105, v128, v105
	v_fma_f16 v128, 0xb9fd, v45, v83
	v_add_f16_e32 v51, v98, v51
	v_fmac_f16_e32 v101, 0x2fb7, v44
	v_add_f16_e32 v57, v114, v57
	v_fmac_f16_e32 v118, 0xb5ac, v44
	;; [unrolled: 2-line block ×3, first 2 shown]
	v_add_f16_e32 v2, v4, v2
	v_fma_f16 v4, v45, 0xb9fd, -v83
	v_add_f16_e32 v0, v62, v0
	v_fmac_f16_e32 v56, 0xb9fd, v44
	v_lshlrev_b32_e32 v3, 16, v3
	v_and_b32_e32 v1, 0xffff, v1
	v_and_b32_e32 v5, 0xffff, v35
	v_add_f16_e32 v53, v53, v64
	v_add_f16_e64 v116, v128, v116
	v_add_f16_e32 v51, v101, v51
	v_add_f16_e32 v8, v118, v57
	v_add_f16_e32 v6, v127, v9
	v_add_f16_e32 v2, v4, v2
	v_add_f16_e32 v0, v56, v0
	v_or_b32_e32 v1, v3, v1
	v_lshlrev_b32_e32 v3, 2, v5
	v_pack_b32_f16 v4, v52, v53
	v_pack_b32_f16 v5, v47, v49
	;; [unrolled: 1-line block ×10, first 2 shown]
	v_perm_b32 v6, v37, v36, 0x5040100
	v_perm_b32 v10, v38, v18, 0x5040100
	ds_store_b32 v3, v1
	ds_store_2addr_b32 v3, v5, v4 offset0:1 offset1:2
	ds_store_2addr_b32 v3, v9, v7 offset0:3 offset1:4
	;; [unrolled: 1-line block ×6, first 2 shown]
.LBB0_7:
	s_wait_alu 0xfffe
	s_or_b32 exec_lo, exec_lo, s0
	v_and_b32_e32 v0, 0xff, v34
	s_load_b128 s[0:3], s[2:3], 0x0
	global_wb scope:SCOPE_SE
	s_wait_dscnt 0x0
	s_wait_kmcnt 0x0
	s_barrier_signal -1
	s_barrier_wait -1
	v_mul_lo_u16 v0, 0x4f, v0
	global_inv scope:SCOPE_SE
	v_add_nc_u32_e32 v61, 0x400, v33
	v_add_nc_u32_e32 v60, 0x800, v33
	;; [unrolled: 1-line block ×3, first 2 shown]
	v_lshrrev_b16 v24, 10, v0
	v_add_nc_u32_e32 v63, 0x1100, v33
	s_delay_alu instid0(VALU_DEP_2) | instskip(SKIP_2) | instid1(VALU_DEP_3)
	v_mul_lo_u16 v0, v24, 13
	v_and_b32_e32 v26, 0xffff, v24
	v_mad_co_u64_u32 v[24:25], null, v34, 40, s[4:5]
	v_sub_nc_u16 v0, v34, v0
	s_delay_alu instid0(VALU_DEP_3) | instskip(NEXT) | instid1(VALU_DEP_2)
	v_mul_u32_u24_e32 v26, 0x8f, v26
	v_and_b32_e32 v17, 0xff, v0
	s_delay_alu instid0(VALU_DEP_1) | instskip(NEXT) | instid1(VALU_DEP_3)
	v_mul_u32_u24_e32 v0, 10, v17
	v_add_lshl_u32 v39, v26, v17, 2
	s_delay_alu instid0(VALU_DEP_2)
	v_lshlrev_b32_e32 v8, 2, v0
	s_clause 0x2
	global_load_b128 v[4:7], v8, s[4:5]
	global_load_b128 v[0:3], v8, s[4:5] offset:16
	global_load_b64 v[19:20], v8, s[4:5] offset:32
	ds_load_2addr_b32 v[8:9], v33 offset1:143
	ds_load_b32 v23, v33 offset:5720
	ds_load_2addr_b32 v[21:22], v61 offset0:30 offset1:173
	ds_load_2addr_b32 v[14:15], v60 offset0:60 offset1:203
	ds_load_2addr_b32 v[12:13], v62 offset0:90 offset1:233
	ds_load_2addr_b32 v[10:11], v63 offset0:56 offset1:199
	global_wb scope:SCOPE_SE
	s_wait_loadcnt_dscnt 0x0
	s_barrier_signal -1
	s_barrier_wait -1
	global_inv scope:SCOPE_SE
	v_lshrrev_b32_e32 v27, 16, v9
	v_lshrrev_b32_e32 v28, 16, v23
	;; [unrolled: 1-line block ×16, first 2 shown]
	v_mul_f16_e32 v17, v27, v59
	v_mul_f16_e32 v26, v9, v59
	v_lshrrev_b32_e32 v55, 16, v0
	v_lshrrev_b32_e32 v52, 16, v3
	v_mul_f16_e32 v45, v30, v57
	v_mul_f16_e32 v46, v21, v57
	v_mul_f16_e32 v47, v31, v58
	v_mul_f16_e32 v73, v44, v51
	v_mul_f16_e32 v75, v28, v50
	v_fma_f16 v9, v9, v4, -v17
	v_fmac_f16_e32 v26, v27, v4
	v_lshrrev_b32_e32 v56, 16, v7
	v_lshrrev_b32_e32 v53, 16, v2
	v_mul_f16_e32 v48, v22, v58
	v_mul_f16_e32 v66, v15, v55
	;; [unrolled: 1-line block ×5, first 2 shown]
	v_fma_f16 v17, v21, v5, -v45
	v_fmac_f16_e32 v46, v30, v5
	v_fma_f16 v21, v22, v6, -v47
	v_fma_f16 v11, v11, v19, -v73
	;; [unrolled: 1-line block ×3, first 2 shown]
	v_add_f16_e32 v23, v9, v8
	v_add_f16_e32 v27, v26, v29
	v_lshrrev_b32_e32 v54, 16, v1
	v_mul_f16_e32 v49, v32, v56
	v_mul_f16_e32 v64, v14, v56
	;; [unrolled: 1-line block ×6, first 2 shown]
	v_fmac_f16_e32 v48, v31, v6
	v_fmac_f16_e32 v66, v40, v0
	v_fma_f16 v10, v10, v3, -v71
	v_add_f16_e32 v31, v17, v11
	v_sub_f16_e32 v40, v17, v11
	v_add_f16_e32 v17, v23, v17
	v_add_f16_e32 v23, v27, v46
	v_mul_f16_e32 v67, v41, v54
	v_mul_f16_e32 v68, v12, v54
	v_fmac_f16_e32 v76, v28, v20
	v_fma_f16 v14, v14, v7, -v49
	v_fmac_f16_e32 v64, v32, v7
	v_fma_f16 v13, v13, v2, -v69
	v_fmac_f16_e32 v70, v42, v2
	v_fmac_f16_e32 v74, v44, v19
	v_add_f16_e32 v42, v21, v10
	v_sub_f16_e32 v44, v21, v10
	v_add_f16_e32 v17, v17, v21
	v_add_f16_e32 v21, v23, v48
	v_fma_f16 v15, v15, v0, -v65
	v_fma_f16 v12, v12, v1, -v67
	v_fmac_f16_e32 v68, v41, v1
	v_fmac_f16_e32 v72, v43, v3
	v_add_f16_e32 v28, v9, v22
	v_add_f16_e32 v30, v26, v76
	v_sub_f16_e32 v9, v9, v22
	v_sub_f16_e32 v26, v26, v76
	v_add_f16_e32 v47, v14, v13
	v_sub_f16_e32 v65, v14, v13
	v_add_f16_e32 v14, v17, v14
	v_add_f16_e32 v17, v21, v64
	;; [unrolled: 1-line block ×3, first 2 shown]
	v_sub_f16_e32 v41, v46, v74
	v_sub_f16_e32 v45, v48, v72
	;; [unrolled: 1-line block ×5, first 2 shown]
	v_mul_f16_e32 v27, 0xb853, v26
	v_mul_f16_e32 v46, 0xb853, v9
	;; [unrolled: 1-line block ×10, first 2 shown]
	v_add_f16_e32 v69, v15, v12
	v_add_f16_e32 v14, v14, v15
	;; [unrolled: 1-line block ×6, first 2 shown]
	v_mul_f16_e32 v83, 0xbb47, v41
	v_mul_f16_e32 v84, 0xbb47, v40
	v_mul_f16_e32 v85, 0xba0c, v41
	v_mul_f16_e32 v86, 0xba0c, v40
	v_mul_f16_e32 v87, 0x3482, v41
	v_mul_f16_e32 v88, 0x3482, v40
	v_mul_f16_e32 v89, 0x3beb, v41
	v_mul_f16_e32 v90, 0x3beb, v40
	v_mul_f16_e32 v41, 0x3853, v41
	v_mul_f16_e32 v40, 0x3853, v40
	v_mul_f16_e32 v91, 0xbbeb, v45
	v_mul_f16_e32 v92, 0xbbeb, v44
	v_mul_f16_e32 v93, 0x3482, v45
	v_mul_f16_e32 v94, 0x3482, v44
	v_mul_f16_e32 v95, 0x3b47, v45
	v_mul_f16_e32 v96, 0x3b47, v44
	v_mul_f16_e32 v97, 0xb853, v45
	v_mul_f16_e32 v98, 0xb853, v44
	v_mul_f16_e32 v45, 0xba0c, v45
	v_mul_f16_e32 v44, 0xba0c, v44
	v_mul_f16_e32 v99, 0xba0c, v67
	v_mul_f16_e32 v100, 0xba0c, v65
	v_mul_f16_e32 v101, 0x3beb, v67
	v_mul_f16_e32 v102, 0x3beb, v65
	v_mul_f16_e32 v103, 0xb853, v67
	v_mul_f16_e32 v104, 0xb853, v65
	v_mul_f16_e32 v105, 0xb482, v67
	v_mul_f16_e32 v106, 0xb482, v65
	v_mul_f16_e32 v67, 0x3b47, v67
	v_mul_f16_e32 v65, 0x3b47, v65
	v_mul_f16_e32 v107, 0xb482, v73
	v_mul_f16_e32 v108, 0xb482, v71
	v_mul_f16_e32 v109, 0x3853, v73
	v_mul_f16_e32 v110, 0x3853, v71
	v_mul_f16_e32 v111, 0xba0c, v73
	v_mul_f16_e32 v112, 0x3b47, v73
	v_mul_f16_e32 v73, 0xbbeb, v73
	v_mul_f16_e32 v113, 0xba0c, v71
	v_mul_f16_e32 v114, 0x3b47, v71
	v_mul_f16_e32 v71, 0xbbeb, v71
	v_fma_f16 v23, v28, 0x3abb, -v27
	v_fmamk_f16 v48, v30, 0x3abb, v46
	v_fmac_f16_e32 v27, 0x3abb, v28
	v_fma_f16 v46, v30, 0x3abb, -v46
	v_fma_f16 v115, v28, 0x36a6, -v77
	v_fmamk_f16 v116, v30, 0x36a6, v78
	v_fmac_f16_e32 v77, 0x36a6, v28
	v_fma_f16 v78, v30, 0x36a6, -v78
	;; [unrolled: 4-line block ×5, first 2 shown]
	v_add_f16_e32 v12, v14, v12
	v_add_f16_e32 v14, v15, v68
	v_fma_f16 v28, v31, 0x36a6, -v83
	v_fmamk_f16 v30, v32, 0x36a6, v84
	v_fmac_f16_e32 v83, 0x36a6, v31
	v_fma_f16 v84, v32, 0x36a6, -v84
	v_fma_f16 v123, v31, 0xb93d, -v85
	v_fmamk_f16 v124, v32, 0xb93d, v86
	v_fmac_f16_e32 v85, 0xb93d, v31
	v_fma_f16 v86, v32, 0xb93d, -v86
	;; [unrolled: 4-line block ×3, first 2 shown]
	v_fma_f16 v127, v31, 0xb08e, -v89
	v_fma_f16 v128, 0xb08e, v32, v90
	v_fmac_f16_e32 v89, 0xb08e, v31
	v_fma_f16 v90, v32, 0xb08e, -v90
	v_fma_f16 v129, v31, 0x3abb, -v41
	v_fma_f16 v130, 0x3abb, v32, v40
	v_fmac_f16_e32 v41, 0x3abb, v31
	v_fma_f16 v31, v32, 0x3abb, -v40
	v_fma_f16 v32, v42, 0xb08e, -v91
	v_fmamk_f16 v40, v43, 0xb08e, v92
	v_fmac_f16_e32 v91, 0xb08e, v42
	v_fma_f16 v92, v43, 0xb08e, -v92
	v_fma_f16 v131, v42, 0xbbad, -v93
	v_fma_f16 v132, 0xbbad, v43, v94
	v_fmac_f16_e32 v93, 0xbbad, v42
	v_fma_f16 v94, v43, 0xbbad, -v94
	v_fma_f16 v133, v42, 0x36a6, -v95
	v_fma_f16 v134, 0x36a6, v43, v96
	;; [unrolled: 4-line block ×4, first 2 shown]
	v_fmac_f16_e32 v45, 0xb93d, v42
	v_fma_f16 v42, v43, 0xb93d, -v44
	v_fma_f16 v43, v47, 0xb93d, -v99
	v_fmamk_f16 v44, v49, 0xb93d, v100
	v_fmac_f16_e32 v99, 0xb93d, v47
	v_fma_f16 v100, v49, 0xb93d, -v100
	v_fma_f16 v139, v47, 0xb08e, -v101
	v_fma_f16 v140, 0xb08e, v49, v102
	v_fmac_f16_e32 v101, 0xb08e, v47
	v_fma_f16 v102, v49, 0xb08e, -v102
	v_fma_f16 v141, v47, 0x3abb, -v103
	v_fma_f16 v142, 0x3abb, v49, v104
	v_fmac_f16_e32 v103, 0x3abb, v47
	v_fma_f16 v104, v49, 0x3abb, -v104
	v_fma_f16 v143, v47, 0xbbad, -v105
	v_fma_f16 v144, 0xbbad, v49, v106
	v_fmac_f16_e32 v105, 0xbbad, v47
	v_fma_f16 v106, v49, 0xbbad, -v106
	v_fma_f16 v145, v47, 0x36a6, -v67
	v_fma_f16 v146, 0x36a6, v49, v65
	v_fmac_f16_e32 v67, 0x36a6, v47
	v_fma_f16 v47, v49, 0x36a6, -v65
	v_fma_f16 v49, v69, 0xbbad, -v107
	v_fmac_f16_e32 v107, 0xbbad, v69
	v_fma_f16 v65, v69, 0x3abb, -v109
	v_fmac_f16_e32 v109, 0x3abb, v69
	;; [unrolled: 2-line block ×5, first 2 shown]
	v_fmamk_f16 v69, v75, 0xbbad, v108
	v_fma_f16 v108, v75, 0xbbad, -v108
	v_fma_f16 v150, 0x3abb, v75, v110
	v_fma_f16 v110, v75, 0x3abb, -v110
	v_fma_f16 v151, 0xb93d, v75, v113
	;; [unrolled: 2-line block ×4, first 2 shown]
	v_fma_f16 v71, v75, 0xb08e, -v71
	v_add_f16_e32 v23, v23, v8
	v_add_f16_e32 v27, v27, v8
	;; [unrolled: 1-line block ×35, first 2 shown]
	v_add_f16_e64 v77, v128, v80
	v_add_f16_e32 v78, v89, v81
	v_add_f16_e32 v79, v90, v82
	v_add_f16_e64 v80, v129, v119
	v_add_f16_e64 v81, v130, v116
	v_add_f16_e32 v8, v41, v8
	v_add_f16_e32 v9, v31, v9
	;; [unrolled: 1-line block ×8, first 2 shown]
	v_add_f16_e64 v26, v131, v27
	v_add_f16_e64 v27, v132, v28
	v_add_f16_e32 v28, v93, v29
	v_add_f16_e32 v29, v94, v30
	v_add_f16_e64 v30, v133, v46
	v_add_f16_e64 v31, v134, v48
	v_add_f16_e32 v32, v95, v64
	v_add_f16_e32 v40, v96, v66
	;; [unrolled: 4-line block ×4, first 2 shown]
	v_add_f16_e32 v10, v10, v11
	v_add_f16_e32 v11, v12, v74
	v_add_f16_e32 v14, v43, v15
	v_add_f16_e32 v15, v44, v17
	v_add_f16_e32 v17, v99, v21
	v_add_f16_e32 v21, v100, v23
	v_add_f16_e64 v23, v139, v26
	v_add_f16_e64 v26, v140, v27
	v_add_f16_e32 v27, v101, v28
	v_add_f16_e32 v28, v102, v29
	v_add_f16_e64 v29, v141, v30
	v_add_f16_e64 v30, v142, v31
	v_add_f16_e32 v31, v103, v32
	v_add_f16_e32 v32, v104, v40
	v_add_f16_e64 v40, v143, v41
	v_add_f16_e64 v41, v144, v46
	v_add_f16_e32 v42, v105, v48
	v_add_f16_e32 v43, v106, v64
	v_add_f16_e64 v44, v145, v66
	v_add_f16_e64 v45, v146, v68
	v_add_f16_e32 v8, v67, v8
	v_add_f16_e32 v9, v47, v9
	v_add_f16_e32 v11, v11, v76
	v_add_f16_e32 v10, v10, v22
	;; [unrolled: 1-line block ×7, first 2 shown]
	v_add_f16_e64 v23, v150, v26
	v_add_f16_e32 v26, v109, v27
	v_add_f16_e32 v27, v110, v28
	v_add_f16_e64 v28, v147, v29
	v_add_f16_e64 v29, v151, v30
	v_add_f16_e32 v30, v111, v31
	v_add_f16_e32 v31, v113, v32
	v_add_f16_e64 v32, v148, v40
	;; [unrolled: 4-line block ×3, first 2 shown]
	v_add_f16_e64 v44, v153, v45
	v_add_f16_e32 v8, v73, v8
	v_add_f16_e32 v9, v71, v9
	v_lshlrev_b32_e32 v11, 16, v11
	v_and_b32_e32 v10, 0xffff, v10
	v_pack_b32_f16 v12, v13, v14
	v_pack_b32_f16 v13, v21, v23
	v_pack_b32_f16 v14, v28, v29
	v_pack_b32_f16 v21, v32, v40
	v_pack_b32_f16 v22, v43, v44
	v_pack_b32_f16 v8, v8, v9
	v_pack_b32_f16 v9, v41, v42
	v_pack_b32_f16 v23, v30, v31
	v_pack_b32_f16 v26, v26, v27
	v_pack_b32_f16 v15, v15, v17
	v_or_b32_e32 v10, v11, v10
	ds_store_2addr_b32 v39, v13, v14 offset0:26 offset1:39
	ds_store_2addr_b32 v39, v21, v22 offset0:52 offset1:65
	;; [unrolled: 1-line block ×4, first 2 shown]
	ds_store_b32 v39, v15 offset:520
	ds_store_2addr_b32 v39, v10, v12 offset1:13
	global_wb scope:SCOPE_SE
	s_wait_dscnt 0x0
	s_barrier_signal -1
	s_barrier_wait -1
	global_inv scope:SCOPE_SE
	s_clause 0x2
	global_load_b128 v[12:15], v[24:25], off offset:520
	global_load_b128 v[8:11], v[24:25], off offset:536
	global_load_b64 v[21:22], v[24:25], off offset:552
	ds_load_2addr_b32 v[23:24], v33 offset1:143
	ds_load_2addr_b32 v[66:67], v61 offset0:30 offset1:173
	ds_load_2addr_b32 v[71:72], v60 offset0:60 offset1:203
	ds_load_2addr_b32 v[76:77], v62 offset0:90 offset1:233
	ds_load_2addr_b32 v[78:79], v63 offset0:56 offset1:199
	ds_load_b32 v68, v33 offset:5720
	s_wait_dscnt 0x5
	v_lshrrev_b32_e32 v27, 16, v24
	s_wait_dscnt 0x4
	v_lshrrev_b32_e32 v30, 16, v66
	v_lshrrev_b32_e32 v32, 16, v67
	s_wait_dscnt 0x2
	v_lshrrev_b32_e32 v81, 16, v76
	;; [unrolled: 3-line block ×4, first 2 shown]
	v_lshrrev_b32_e32 v73, 16, v71
	v_lshrrev_b32_e32 v80, 16, v72
	v_lshrrev_b32_e32 v28, 16, v23
	s_wait_loadcnt 0x2
	v_lshrrev_b32_e32 v49, 16, v12
	v_lshrrev_b32_e32 v48, 16, v13
	v_lshrrev_b32_e32 v46, 16, v15
	s_wait_loadcnt 0x1
	;; [unrolled: 4-line block ×3, first 2 shown]
	v_lshrrev_b32_e32 v41, 16, v21
	v_lshrrev_b32_e32 v40, 16, v22
	v_mul_f16_e32 v64, v27, v49
	v_mul_f16_e32 v86, v24, v49
	v_lshrrev_b32_e32 v47, 16, v14
	v_lshrrev_b32_e32 v45, 16, v8
	v_mul_f16_e32 v70, v30, v48
	v_mul_f16_e32 v69, v66, v48
	;; [unrolled: 1-line block ×10, first 2 shown]
	v_fma_f16 v95, v24, v12, -v64
	v_fmac_f16_e32 v86, v27, v12
	v_mul_f16_e32 v87, v32, v47
	v_mul_f16_e32 v65, v67, v47
	;; [unrolled: 1-line block ×8, first 2 shown]
	v_fma_f16 v70, v66, v13, -v70
	v_fmac_f16_e32 v69, v30, v13
	v_fmac_f16_e32 v31, v73, v15
	v_fma_f16 v30, v76, v9, -v90
	v_fma_f16 v27, v77, v10, -v91
	;; [unrolled: 1-line block ×5, first 2 shown]
	v_fmac_f16_e32 v74, v85, v22
	v_fmac_f16_e32 v75, v84, v21
	v_add_f16_e32 v73, v95, v23
	v_add_f16_e32 v78, v86, v28
	v_fma_f16 v66, v67, v14, -v87
	v_fmac_f16_e32 v65, v32, v14
	v_fma_f16 v64, v71, v15, -v88
	v_fma_f16 v32, v72, v8, -v89
	v_fmac_f16_e32 v29, v80, v8
	v_fmac_f16_e32 v26, v81, v9
	;; [unrolled: 1-line block ×4, first 2 shown]
	v_sub_f16_e32 v79, v95, v76
	v_sub_f16_e32 v80, v86, v74
	v_add_f16_e32 v71, v70, v77
	v_add_f16_e32 v72, v69, v75
	v_sub_f16_e32 v83, v70, v77
	v_sub_f16_e32 v84, v69, v75
	v_add_f16_e32 v70, v73, v70
	v_add_f16_e32 v69, v78, v69
	;; [unrolled: 1-line block ×6, first 2 shown]
	v_sub_f16_e32 v86, v66, v24
	v_sub_f16_e32 v87, v65, v17
	;; [unrolled: 1-line block ×6, first 2 shown]
	v_mul_f16_e32 v73, 0xb853, v80
	v_mul_f16_e32 v78, 0xb853, v79
	;; [unrolled: 1-line block ×6, first 2 shown]
	v_add_f16_e32 v66, v70, v66
	v_add_f16_e32 v65, v69, v65
	;; [unrolled: 1-line block ×6, first 2 shown]
	v_mul_f16_e32 v96, 0xbb47, v79
	v_mul_f16_e32 v98, 0xbbeb, v79
	;; [unrolled: 1-line block ×37, first 2 shown]
	v_mul_f16_e64 v128, 0x3b47, v91
	v_mul_f16_e32 v91, 0xbbeb, v91
	v_mul_f16_e64 v129, 0xb482, v93
	v_mul_f16_e64 v130, 0x3853, v93
	;; [unrolled: 1-line block ×4, first 2 shown]
	v_mul_f16_e32 v93, 0xbbeb, v93
	v_fma_f16 v69, v67, 0x3abb, -v73
	v_fmamk_f16 v70, v68, 0x3abb, v78
	v_fmac_f16_e32 v73, 0x3abb, v67
	v_fma_f16 v78, v68, 0x3abb, -v78
	v_fma_f16 v133, v67, 0x36a6, -v95
	v_fmac_f16_e32 v95, 0x36a6, v67
	v_fma_f16 v135, v67, 0xb08e, -v97
	v_fmac_f16_e32 v97, 0xb08e, v67
	;; [unrolled: 2-line block ×4, first 2 shown]
	v_add_f16_e32 v64, v66, v64
	v_add_f16_e32 v31, v65, v31
	v_fma_f16 v134, 0x36a6, v68, v96
	v_fma_f16 v96, v68, 0x36a6, -v96
	v_fma_f16 v136, 0xb08e, v68, v98
	v_fma_f16 v98, v68, 0xb08e, -v98
	;; [unrolled: 2-line block ×4, first 2 shown]
	v_fma_f16 v68, v71, 0x36a6, -v101
	v_fmamk_f16 v79, v72, 0x36a6, v102
	v_fmac_f16_e32 v101, 0x36a6, v71
	v_fma_f16 v102, v72, 0x36a6, -v102
	v_fma_f16 v141, v71, 0xb93d, -v103
	v_fma_f16 v142, 0xb93d, v72, v104
	v_fmac_f16_e32 v103, 0xb93d, v71
	v_fma_f16 v104, v72, 0xb93d, -v104
	v_fma_f16 v143, v71, 0xbbad, -v105
	v_fma_f16 v144, 0xbbad, v72, v106
	;; [unrolled: 4-line block ×4, first 2 shown]
	v_fmac_f16_e32 v84, 0x3abb, v71
	v_fma_f16 v71, v72, 0x3abb, -v83
	v_fma_f16 v72, v81, 0xb08e, -v109
	v_fmamk_f16 v83, v82, 0xb08e, v110
	v_fmac_f16_e32 v109, 0xb08e, v81
	v_fma_f16 v110, v82, 0xb08e, -v110
	v_fma_f16 v149, v81, 0xbbad, -v111
	v_fma_f16 v150, 0xbbad, v82, v112
	v_fmac_f16_e32 v111, 0xbbad, v81
	v_fma_f16 v112, v82, 0xbbad, -v112
	v_fma_f16 v151, v81, 0x36a6, -v113
	v_fma_f16 v152, 0x36a6, v82, v114
	;; [unrolled: 4-line block ×4, first 2 shown]
	v_fmac_f16_e32 v87, 0xb93d, v81
	v_fma_f16 v81, v82, 0xb93d, -v86
	v_fma_f16 v82, v85, 0xb93d, -v117
	v_fmac_f16_e32 v117, 0xb93d, v85
	v_fma_f16 v86, v85, 0xb08e, -v119
	v_fmac_f16_e32 v119, 0xb08e, v85
	;; [unrolled: 2-line block ×5, first 2 shown]
	v_fmamk_f16 v85, v90, 0xb93d, v118
	v_fma_f16 v118, v90, 0xb93d, -v118
	v_fma_f16 v160, 0xb08e, v90, v120
	v_fma_f16 v120, v90, 0xb08e, -v120
	v_fma_f16 v161, 0x3abb, v90, v123
	;; [unrolled: 2-line block ×4, first 2 shown]
	v_fma_f16 v88, v90, 0x36a6, -v88
	v_fma_f16 v90, v92, 0xbbad, -v125
	v_fmac_f16_e32 v125, 0xbbad, v92
	v_fma_f16 v164, v92, 0x3abb, -v126
	v_fmac_f16_e32 v126, 0x3abb, v92
	;; [unrolled: 2-line block ×3, first 2 shown]
	v_fma_f16 v166, v92, 0x36a6, -v128
	v_fmac_f16_e64 v128, 0x36a6, v92
	v_fma_f16 v167, v92, 0xb08e, -v91
	v_fmac_f16_e32 v91, 0xb08e, v92
	v_fma_f16 v92, 0xbbad, v94, v129
	v_fma_f16 v129, v94, 0xbbad, -v129
	v_fma_f16 v168, 0x3abb, v94, v130
	v_fma_f16 v130, v94, 0x3abb, -v130
	;; [unrolled: 2-line block ×5, first 2 shown]
	v_add_f16_e32 v69, v69, v23
	v_add_f16_e32 v73, v73, v23
	v_add_f16_e64 v94, v133, v23
	v_add_f16_e32 v95, v95, v23
	v_add_f16_e64 v133, v135, v23
	v_add_f16_e32 v97, v97, v23
	v_add_f16_e64 v135, v137, v23
	v_add_f16_e32 v99, v99, v23
	v_add_f16_e64 v137, v139, v23
	v_add_f16_e32 v23, v80, v23
	v_add_f16_e32 v65, v70, v28
	;; [unrolled: 1-line block ×5, first 2 shown]
	v_add_f16_e64 v70, v134, v28
	v_add_f16_e32 v78, v96, v28
	v_add_f16_e64 v80, v136, v28
	v_add_f16_e32 v96, v98, v28
	;; [unrolled: 2-line block ×4, first 2 shown]
	v_add_f16_e32 v31, v68, v69
	v_add_f16_e32 v64, v79, v65
	;; [unrolled: 1-line block ×4, first 2 shown]
	v_add_f16_e64 v67, v141, v94
	v_add_f16_e32 v23, v84, v23
	v_add_f16_e32 v30, v32, v30
	;; [unrolled: 1-line block ×7, first 2 shown]
	v_add_f16_e64 v65, v149, v67
	v_add_f16_e32 v23, v87, v23
	v_add_f16_e32 v27, v30, v27
	;; [unrolled: 1-line block ×3, first 2 shown]
	v_add_f16_e64 v68, v142, v70
	v_add_f16_e32 v69, v103, v95
	v_add_f16_e32 v70, v104, v78
	v_add_f16_e64 v73, v143, v133
	v_add_f16_e64 v78, v144, v80
	v_add_f16_e32 v79, v105, v97
	v_add_f16_e32 v80, v106, v96
	v_add_f16_e64 v94, v145, v135
	v_add_f16_e64 v95, v146, v98
	v_add_f16_e32 v96, v107, v99
	v_add_f16_e64 v98, v147, v137
	v_add_f16_e64 v99, v148, v134
	v_add_f16_e32 v26, v82, v29
	v_add_f16_e32 v29, v85, v31
	;; [unrolled: 1-line block ×10, first 2 shown]
	v_add_f16_e64 v66, v150, v68
	v_add_f16_e32 v67, v111, v69
	v_add_f16_e32 v68, v112, v70
	v_add_f16_e64 v69, v151, v73
	v_add_f16_e64 v70, v152, v78
	v_add_f16_e32 v71, v113, v79
	v_add_f16_e64 v73, v153, v94
	v_add_f16_e64 v78, v154, v95
	;; [unrolled: 1-line block ×5, first 2 shown]
	v_add_f16_e32 v31, v91, v23
	v_add_f16_e32 v23, v86, v77
	;; [unrolled: 1-line block ×7, first 2 shown]
	v_add_f16_e64 v65, v160, v66
	v_add_f16_e32 v66, v119, v67
	v_add_f16_e32 v67, v120, v68
	v_add_f16_e64 v68, v157, v69
	v_add_f16_e64 v69, v161, v70
	v_add_f16_e32 v70, v121, v71
	v_add_f16_e64 v82, v158, v73
	v_add_f16_e64 v78, v162, v78
	v_add_f16_e64 v83, v159, v83
	v_add_f16_e64 v84, v163, v84
	v_add_f16_e32 v74, v75, v74
	v_add_f16_e32 v23, v23, v76
	;; [unrolled: 1-line block ×8, first 2 shown]
	v_add_f16_e64 v27, v164, v32
	v_add_f16_e64 v72, v168, v65
	;; [unrolled: 1-line block ×4, first 2 shown]
	v_add_f16_e32 v25, v127, v70
	v_add_f16_e64 v29, v166, v82
	v_add_f16_e64 v70, v170, v78
	;; [unrolled: 1-line block ×4, first 2 shown]
	v_lshlrev_b32_e32 v74, 16, v74
	v_and_b32_e32 v23, 0xffff, v23
	v_add_f16_e64 v65, v130, v67
	v_add_f16_e64 v32, v128, v79
	;; [unrolled: 1-line block ×3, first 2 shown]
	v_add_f16_e32 v68, v93, v85
	v_add_f16_e32 v24, v90, v26
	;; [unrolled: 1-line block ×3, first 2 shown]
	v_add_f16_e64 v66, v131, v81
	v_pack_b32_f16 v78, v27, v72
	v_pack_b32_f16 v79, v28, v71
	;; [unrolled: 1-line block ×4, first 2 shown]
	v_or_b32_e32 v23, v74, v23
	v_pack_b32_f16 v76, v31, v68
	v_pack_b32_f16 v81, v32, v67
	;; [unrolled: 1-line block ×6, first 2 shown]
	ds_store_2addr_b32 v61, v78, v79 offset0:30 offset1:173
	ds_store_2addr_b32 v60, v80, v75 offset0:60 offset1:203
	;; [unrolled: 1-line block ×4, first 2 shown]
	ds_store_b32 v33, v84 offset:5720
	ds_store_2addr_b32 v33, v23, v77 offset1:143
	global_wb scope:SCOPE_SE
	s_wait_dscnt 0x0
	s_barrier_signal -1
	s_barrier_wait -1
	global_inv scope:SCOPE_SE
	s_and_saveexec_b32 s6, vcc_lo
	s_cbranch_execz .LBB0_9
; %bb.8:
	s_add_nc_u64 s[4:5], s[20:21], 0x1894
	s_clause 0xc
	global_load_b32 v62, v33, s[20:21] offset:6292
	global_load_b32 v63, v33, s[4:5] offset:484
	;; [unrolled: 1-line block ×13, first 2 shown]
	ds_load_2addr_b32 v[60:61], v33 offset1:121
	v_add_nc_u32_e32 v91, 0x200, v33
	v_add_nc_u32_e32 v92, 0x600, v33
	v_add_nc_u32_e32 v93, 0xa00, v33
	v_add_nc_u32_e32 v94, 0xe00, v33
	v_add_nc_u32_e32 v95, 0x1200, v33
	s_wait_dscnt 0x0
	v_lshrrev_b32_e32 v74, 16, v60
	v_lshrrev_b32_e32 v76, 16, v61
	s_wait_loadcnt 0xc
	v_lshrrev_b32_e32 v75, 16, v62
	s_wait_loadcnt 0xb
	;; [unrolled: 2-line block ×5, first 2 shown]
	v_lshrrev_b32_e32 v98, 16, v82
	v_mul_f16_e32 v78, v74, v75
	v_mul_f16_e32 v75, v60, v75
	;; [unrolled: 1-line block ×4, first 2 shown]
	s_wait_loadcnt 0x3
	v_lshrrev_b32_e32 v104, 16, v87
	v_fma_f16 v60, v60, v62, -v78
	v_fmac_f16_e32 v75, v74, v62
	v_fma_f16 v61, v61, v63, -v79
	v_fmac_f16_e32 v77, v76, v63
	v_lshrrev_b32_e32 v99, 16, v83
	v_lshrrev_b32_e32 v100, 16, v84
	v_pack_b32_f16 v60, v60, v75
	v_lshrrev_b32_e32 v101, 16, v85
	v_pack_b32_f16 v61, v61, v77
	v_lshrrev_b32_e32 v102, 16, v86
	s_wait_loadcnt 0x2
	v_lshrrev_b32_e32 v105, 16, v88
	s_wait_loadcnt 0x1
	v_lshrrev_b32_e32 v106, 16, v89
	s_wait_loadcnt 0x0
	v_lshrrev_b32_e32 v107, 16, v90
	ds_store_2addr_b32 v33, v60, v61 offset1:121
	ds_load_2addr_b32 v[60:61], v91 offset0:114 offset1:235
	ds_load_2addr_b32 v[62:63], v92 offset0:100 offset1:221
	;; [unrolled: 1-line block ×5, first 2 shown]
	ds_load_b32 v103, v33 offset:5808
	s_wait_dscnt 0x5
	v_lshrrev_b32_e32 v108, 16, v60
	v_lshrrev_b32_e32 v110, 16, v61
	s_wait_dscnt 0x4
	v_lshrrev_b32_e32 v112, 16, v62
	v_lshrrev_b32_e32 v114, 16, v63
	;; [unrolled: 3-line block ×5, first 2 shown]
	v_mul_f16_e32 v109, v60, v104
	v_mul_f16_e32 v111, v61, v96
	s_wait_dscnt 0x0
	v_lshrrev_b32_e32 v128, 16, v103
	v_mul_f16_e32 v104, v108, v104
	v_mul_f16_e32 v96, v110, v96
	;; [unrolled: 1-line block ×18, first 2 shown]
	v_mul_f16_e64 v129, v103, v107
	v_fmac_f16_e32 v109, v108, v87
	v_fmac_f16_e32 v111, v110, v80
	v_mul_f16_e64 v107, v128, v107
	v_fma_f16 v60, v60, v87, -v104
	v_fma_f16 v61, v61, v80, -v96
	v_fmac_f16_e32 v113, v112, v81
	v_fmac_f16_e32 v115, v114, v82
	v_fma_f16 v62, v62, v81, -v97
	v_fma_f16 v63, v63, v82, -v98
	v_fmac_f16_e32 v117, v116, v83
	v_fmac_f16_e32 v119, v118, v84
	;; [unrolled: 4-line block ×4, first 2 shown]
	v_fma_f16 v78, v78, v88, -v105
	v_fma_f16 v79, v79, v89, -v106
	v_fmac_f16_e64 v129, v128, v90
	v_fma_f16 v80, v103, v90, -v107
	v_pack_b32_f16 v60, v60, v109
	v_pack_b32_f16 v61, v61, v111
	;; [unrolled: 1-line block ×11, first 2 shown]
	ds_store_2addr_b32 v91, v60, v61 offset0:114 offset1:235
	ds_store_2addr_b32 v92, v62, v63 offset0:100 offset1:221
	;; [unrolled: 1-line block ×5, first 2 shown]
	ds_store_b32 v33, v80 offset:5808
.LBB0_9:
	s_wait_alu 0xfffe
	s_or_b32 exec_lo, exec_lo, s6
	global_wb scope:SCOPE_SE
	s_wait_dscnt 0x0
	s_barrier_signal -1
	s_barrier_wait -1
	global_inv scope:SCOPE_SE
	s_and_saveexec_b32 s4, vcc_lo
	s_cbranch_execz .LBB0_11
; %bb.10:
	v_add_nc_u32_e32 v17, 0x200, v33
	v_add_nc_u32_e32 v18, 0x600, v33
	;; [unrolled: 1-line block ×3, first 2 shown]
	ds_load_2addr_b32 v[23:24], v33 offset1:121
	ds_load_2addr_b32 v[27:28], v17 offset0:114 offset1:235
	v_add_nc_u32_e32 v17, 0xe00, v33
	ds_load_2addr_b32 v[29:30], v18 offset0:100 offset1:221
	v_add_nc_u32_e32 v18, 0x1200, v33
	ds_load_2addr_b32 v[31:32], v25 offset0:86 offset1:207
	ds_load_2addr_b32 v[25:26], v17 offset0:72 offset1:193
	;; [unrolled: 1-line block ×3, first 2 shown]
	ds_load_b32 v36, v33 offset:5808
	s_wait_dscnt 0x6
	v_lshrrev_b32_e32 v73, 16, v24
	s_wait_dscnt 0x5
	v_lshrrev_b32_e32 v72, 16, v27
	v_lshrrev_b32_e32 v71, 16, v28
	s_wait_dscnt 0x4
	v_lshrrev_b32_e32 v70, 16, v29
	;; [unrolled: 3-line block ×6, first 2 shown]
.LBB0_11:
	s_wait_alu 0xfffe
	s_or_b32 exec_lo, exec_lo, s4
	global_wb scope:SCOPE_SE
	s_barrier_signal -1
	s_barrier_wait -1
	global_inv scope:SCOPE_SE
	s_and_saveexec_b32 s4, vcc_lo
	s_cbranch_execz .LBB0_13
; %bb.12:
	v_add_f16_e32 v88, v37, v73
	v_sub_f16_e32 v63, v24, v36
	v_add_f16_e32 v89, v38, v72
	v_lshrrev_b32_e32 v60, 16, v23
	v_sub_f16_e32 v74, v27, v18
	v_mul_f16_e32 v90, 0xbbc4, v88
	v_add_f16_e32 v91, v64, v71
	v_mul_f16_e32 v93, 0x3b15, v89
	v_sub_f16_e32 v61, v28, v17
	v_add_f16_e32 v92, v65, v70
	v_fmamk_f16 v75, v63, 0x33a8, v90
	v_mul_f16_e32 v95, 0xb9fd, v91
	v_fmamk_f16 v76, v74, 0xb770, v93
	v_sub_f16_e32 v62, v29, v26
	v_add_f16_e32 v94, v66, v69
	v_add_f16_e32 v77, v75, v60
	v_sub_f16_e32 v96, v73, v37
	v_mul_f16_e32 v97, 0x388b, v92
	v_fmamk_f16 v79, v61, 0x394e, v95
	v_sub_f16_e32 v75, v30, v25
	v_add_f16_e32 v76, v76, v77
	v_add_f16_e32 v78, v36, v24
	v_mul_f16_e32 v98, 0xb5ac, v94
	v_mul_f16_e32 v99, 0xb3a8, v96
	v_fmamk_f16 v77, v62, 0xba95, v97
	v_add_f16_e32 v76, v79, v76
	v_sub_f16_e32 v100, v72, v38
	v_add_f16_e32 v79, v18, v27
	v_fmamk_f16 v80, v75, 0x3b7b, v98
	v_fmamk_f16 v81, v78, 0xbbc4, v99
	v_add_f16_e32 v76, v77, v76
	v_mul_f16_e32 v101, 0x3770, v100
	v_sub_f16_e32 v103, v71, v64
	v_add_f16_e32 v102, v67, v68
	v_add_f16_e32 v81, v81, v23
	;; [unrolled: 1-line block ×3, first 2 shown]
	v_fmamk_f16 v82, v79, 0x3b15, v101
	v_add_f16_e32 v80, v17, v28
	v_mul_f16_e32 v104, 0xb94e, v103
	v_sub_f16_e32 v106, v70, v65
	v_mul_f16_e32 v105, 0x2fb7, v102
	v_sub_f16_e32 v77, v31, v32
	v_add_f16_e32 v82, v82, v81
	v_fmamk_f16 v83, v80, 0xb9fd, v104
	v_add_f16_e32 v81, v26, v29
	v_mul_f16_e32 v107, 0x3a95, v106
	v_sub_f16_e32 v108, v69, v66
	v_fmamk_f16 v84, v77, 0xbbf1, v105
	v_add_f16_e32 v83, v83, v82
	v_add_f16_e32 v82, v25, v30
	v_fmamk_f16 v85, v81, 0x388b, v107
	v_mul_f16_e32 v110, 0xbb7b, v108
	v_sub_f16_e32 v111, v68, v67
	v_add_f16_e32 v76, v84, v76
	v_mul_f16_e32 v115, 0xb94e, v96
	v_add_f16_e32 v84, v85, v83
	v_fmamk_f16 v86, v82, 0xb5ac, v110
	v_add_f16_e32 v83, v32, v31
	v_mul_f16_e32 v113, 0x3bf1, v111
	v_mul_f16_e32 v117, 0x3bf1, v100
	;; [unrolled: 1-line block ×3, first 2 shown]
	v_add_f16_e32 v84, v86, v84
	v_mul_f16_e32 v122, 0x33a8, v106
	v_fmamk_f16 v86, v83, 0x2fb7, v113
	v_fmamk_f16 v119, v79, 0x2fb7, v117
	v_mul_f16_e32 v124, 0x3770, v108
	v_mul_f16_e32 v126, 0xbb7b, v111
	v_mul_f16_e64 v129, 0xbb7b, v96
	v_add_f16_e32 v84, v86, v84
	v_fmamk_f16 v86, v78, 0xb9fd, v115
	v_mul_f16_e64 v131, 0x394e, v100
	v_mul_f16_e64 v134, 0x3770, v103
	;; [unrolled: 1-line block ×4, first 2 shown]
	v_add_f16_e32 v86, v86, v23
	v_fma_f16 v133, 0xb9fd, v79, v131
	v_mul_f16_e64 v140, 0x3a95, v111
	v_mul_f16_e64 v143, 0xbbf1, v96
	;; [unrolled: 1-line block ×3, first 2 shown]
	v_add_f16_e32 v86, v119, v86
	v_fmamk_f16 v119, v80, 0x388b, v120
	v_mul_f16_e64 v148, 0x3b7b, v103
	v_mul_f16_e64 v150, 0x3770, v106
	v_fma_f16 v147, 0xbbc4, v79, v145
	v_mul_f16_e32 v109, 0xb9fd, v88
	v_add_f16_e32 v86, v119, v86
	v_fmamk_f16 v119, v81, 0xbbc4, v122
	v_mul_f16_e64 v152, 0xba95, v108
	v_mul_f16_e32 v112, 0x2fb7, v89
	v_fmamk_f16 v85, v63, 0x394e, v109
	v_mul_f16_e64 v154, 0xb94e, v111
	v_add_f16_e32 v86, v119, v86
	v_fmamk_f16 v119, v82, 0x3b15, v124
	v_fmamk_f16 v87, v74, 0xbbf1, v112
	v_add_f16_e32 v85, v85, v60
	v_mul_f16_e32 v114, 0x388b, v91
	v_mul_f16_e64 v157, 0xba95, v96
	v_add_f16_e32 v86, v119, v86
	v_fmamk_f16 v119, v83, 0xb5ac, v126
	v_add_f16_e32 v85, v87, v85
	v_fmamk_f16 v87, v61, 0x3a95, v114
	v_mul_f16_e32 v116, 0xbbc4, v92
	v_mul_f16_e64 v159, 0xbb7b, v100
	v_add_f16_e32 v86, v119, v86
	v_fma_f16 v119, 0xb5ac, v78, v129
	v_add_f16_e32 v85, v87, v85
	v_fmamk_f16 v87, v62, 0xb3a8, v116
	v_mul_f16_e32 v118, 0x3b15, v94
	v_fma_f16 v161, 0xb5ac, v79, v159
	v_add_f16_e32 v119, v119, v23
	v_mul_f16_e64 v162, 0xb3a8, v103
	v_add_f16_e32 v85, v87, v85
	v_fmamk_f16 v87, v75, 0xb770, v118
	v_mul_f16_e32 v121, 0xb5ac, v102
	v_add_f16_e64 v119, v133, v119
	v_fma_f16 v133, 0x3b15, v80, v134
	v_mul_f16_e64 v164, 0x394e, v106
	v_add_f16_e32 v85, v87, v85
	v_fmamk_f16 v87, v77, 0x3b7b, v121
	v_mul_f16_e32 v123, 0xb5ac, v88
	v_add_f16_e64 v119, v133, v119
	v_fma_f16 v133, 0x2fb7, v81, v136
	;; [unrolled: 6-line block ×3, first 2 shown]
	v_mul_f16_e64 v166, 0x3770, v111
	v_add_f16_e32 v87, v87, v60
	v_fmamk_f16 v127, v74, 0xb94e, v125
	v_mul_f16_e64 v128, 0x3b15, v91
	v_add_f16_e64 v119, v133, v119
	v_fma_f16 v133, 0x388b, v83, v140
	v_mul_f16_e32 v96, 0xb770, v96
	v_add_f16_e32 v87, v127, v87
	v_fma_f16 v127, 0xb770, v61, v128
	v_mul_f16_e64 v130, 0x2fb7, v92
	v_add_f16_e64 v119, v133, v119
	v_fma_f16 v133, 0x2fb7, v78, v143
	v_mul_f16_e32 v100, 0xba95, v100
	v_add_f16_e32 v87, v127, v87
	v_fma_f16 v127, 0x3bf1, v62, v130
	;; [unrolled: 6-line block ×3, first 2 shown]
	v_add_f16_e64 v133, v147, v133
	v_fma_f16 v147, 0xb5ac, v80, v148
	v_mul_f16_e64 v135, 0x388b, v102
	v_mul_f16_e32 v106, 0xbb7b, v106
	v_fmac_f16_e32 v90, 0xb3a8, v63
	v_add_f16_e32 v87, v127, v87
	v_add_f16_e64 v133, v147, v133
	v_fma_f16 v147, 0x3b15, v81, v150
	v_fma_f16 v127, 0xba95, v77, v135
	v_mul_f16_e64 v137, 0x2fb7, v88
	v_add_f16_e32 v90, v90, v60
	v_fmac_f16_e32 v93, 0x3770, v74
	v_add_f16_e64 v133, v147, v133
	v_fma_f16 v147, 0x388b, v82, v152
	v_mul_f16_e32 v108, 0xb94e, v108
	v_fma_f16 v99, v78, 0xbbc4, -v99
	v_add_f16_e32 v87, v127, v87
	v_fma_f16 v127, 0x3bf1, v63, v137
	v_add_f16_e64 v133, v147, v133
	v_fma_f16 v147, 0xb9fd, v83, v154
	v_mul_f16_e64 v139, 0xbbc4, v89
	v_add_f16_e32 v90, v93, v90
	v_fmac_f16_e32 v95, 0xb94e, v61
	v_fmamk_f16 v93, v82, 0xb9fd, v108
	v_add_f16_e64 v133, v147, v133
	v_fma_f16 v147, 0x388b, v78, v157
	v_mul_f16_e32 v111, 0xb3a8, v111
	v_add_f16_e32 v99, v99, v23
	v_fma_f16 v101, v79, 0x3b15, -v101
	v_add_f16_e32 v127, v127, v60
	v_add_f16_e64 v147, v147, v23
	v_fma_f16 v141, 0x33a8, v74, v139
	v_mul_f16_e64 v142, 0xb5ac, v91
	v_add_f16_e32 v90, v95, v90
	v_fmac_f16_e32 v97, 0x3a95, v62
	v_add_f16_e64 v147, v161, v147
	v_fma_f16 v161, 0xbbc4, v80, v162
	v_fmamk_f16 v95, v83, 0xbbc4, v111
	v_add_f16_e32 v99, v101, v99
	v_fma_f16 v101, v80, 0xb9fd, -v104
	v_add_f16_e64 v127, v141, v127
	v_add_f16_e64 v147, v161, v147
	v_fma_f16 v161, 0xb9fd, v81, v164
	v_fma_f16 v141, 0xbb7b, v61, v142
	v_mul_f16_e64 v144, 0x3b15, v92
	v_add_f16_e32 v90, v97, v90
	v_fma_f16 v97, v81, 0x388b, -v107
	v_add_f16_e64 v147, v161, v147
	v_fma_f16 v161, 0x2fb7, v82, v165
	v_add_f16_e64 v127, v141, v127
	v_fma_f16 v141, 0xb770, v62, v144
	v_mul_f16_e64 v146, 0x388b, v94
	v_mul_f16_e64 v149, 0xb9fd, v102
	v_add_f16_e64 v147, v161, v147
	v_fma_f16 v161, 0x3b15, v83, v166
	v_add_f16_e64 v127, v141, v127
	v_fma_f16 v141, 0x3a95, v75, v146
	v_mul_f16_e64 v151, 0x388b, v88
	v_add_f16_e32 v73, v73, v60
	v_add_f16_e64 v147, v161, v147
	v_fma_f16 v161, 0x3b15, v78, v96
	v_add_f16_e64 v127, v141, v127
	v_fma_f16 v141, 0x394e, v77, v149
	v_add_f16_e32 v24, v24, v23
	v_mul_f16_e64 v153, 0xb5ac, v89
	v_add_f16_e64 v161, v161, v23
	v_fmac_f16_e32 v98, 0xbb7b, v75
	v_add_f16_e64 v127, v141, v127
	v_fma_f16 v141, 0x3a95, v63, v151
	v_add_f16_e32 v72, v72, v73
	v_add_f16_e64 v161, v168, v161
	v_fma_f16 v168, 0x2fb7, v80, v103
	v_add_f16_e32 v24, v27, v24
	v_add_f16_e64 v141, v141, v60
	v_fma_f16 v155, 0x3b7b, v74, v153
	v_mul_f16_e64 v156, 0xbbc4, v91
	v_add_f16_e64 v161, v168, v161
	v_fma_f16 v168, 0xb5ac, v81, v106
	v_add_f16_e32 v90, v98, v90
	v_fmac_f16_e32 v105, 0x3bf1, v77
	v_fma_f16 v104, v78, 0xb5ac, -v129
	v_add_f16_e32 v71, v71, v72
	v_add_f16_e64 v161, v168, v161
	v_add_f16_e32 v24, v28, v24
	v_add_f16_e64 v141, v155, v141
	v_fma_f16 v155, 0x33a8, v61, v156
	v_mul_f16_e64 v158, 0xb9fd, v92
	v_add_f16_e64 v93, v93, v161
	v_add_f16_e32 v90, v105, v90
	v_add_f16_e32 v104, v104, v23
	v_fma_f16 v105, v79, 0xb9fd, -v131
	v_add_f16_e32 v70, v70, v71
	v_add_f16_e32 v93, v95, v93
	;; [unrolled: 1-line block ×3, first 2 shown]
	v_fma_f16 v99, v78, 0xb9fd, -v115
	v_fma_f16 v101, v79, 0x2fb7, -v117
	v_add_f16_e32 v24, v29, v24
	v_add_f16_e64 v141, v155, v141
	v_add_f16_e32 v95, v97, v95
	v_fma_f16 v97, v82, 0xb5ac, -v110
	v_add_f16_e32 v99, v99, v23
	v_fma_f16 v155, 0xb94e, v62, v158
	v_mul_f16_e64 v160, 0x2fb7, v94
	v_add_f16_e32 v69, v69, v70
	v_add_f16_e32 v95, v97, v95
	v_fma_f16 v97, v83, 0x2fb7, -v113
	v_add_f16_e32 v24, v30, v24
	v_add_f16_e64 v141, v155, v141
	v_fma_f16 v155, 0xbbf1, v75, v160
	v_mul_f16_e64 v163, 0x3b15, v102
	v_add_f16_e32 v95, v97, v95
	v_add_f16_e32 v97, v101, v99
	v_fma_f16 v99, v80, 0x388b, -v120
	v_fmac_f16_e32 v109, 0xb94e, v63
	v_fma_f16 v107, v78, 0x2fb7, -v143
	v_add_f16_e32 v30, v68, v69
	v_add_f16_e32 v24, v31, v24
	;; [unrolled: 1-line block ×3, first 2 shown]
	v_fma_f16 v99, v81, 0xbbc4, -v122
	v_add_f16_e64 v141, v155, v141
	v_fma_f16 v155, 0xb770, v77, v163
	v_mul_f16_e32 v88, 0x3b15, v88
	v_add_f16_e32 v98, v109, v60
	v_add_f16_e32 v97, v99, v97
	v_fma_f16 v99, v82, 0x3b15, -v124
	v_add_f16_e32 v107, v107, v23
	v_fma_f16 v109, v79, 0xbbc4, -v145
	v_fma_f16 v110, v78, 0x388b, -v157
	v_fma_f16 v31, v78, 0x3b15, -v96
	v_add_f16_e32 v97, v99, v97
	v_fma_f16 v99, v83, 0xb5ac, -v126
	v_add_f16_e32 v30, v67, v30
	v_add_f16_e32 v24, v32, v24
	v_add_f16_e64 v141, v155, v141
	v_fma_f16 v155, 0x3770, v63, v88
	v_add_f16_e32 v97, v99, v97
	v_add_f16_e32 v99, v105, v104
	v_fma_f16 v104, v80, 0x3b15, -v134
	v_mul_f16_e32 v89, 0x388b, v89
	v_fmac_f16_e32 v112, 0x3bf1, v74
	v_fmac_f16_e32 v123, 0xbb7b, v63
	v_fmac_f16_e64 v137, 0xbbf1, v63
	v_add_f16_e32 v99, v104, v99
	v_fma_f16 v104, v81, 0x2fb7, -v136
	v_add_f16_e32 v107, v109, v107
	v_fma_f16 v109, v80, 0xb5ac, -v148
	v_fmac_f16_e64 v151, 0xba95, v63
	v_add_f16_e32 v110, v110, v23
	v_add_f16_e32 v99, v104, v99
	v_fma_f16 v104, v82, 0xbbc4, -v138
	v_fmac_f16_e32 v88, 0xb770, v63
	v_add_f16_e32 v23, v31, v23
	v_fma_f16 v31, v79, 0x388b, -v100
	v_add_f16_e32 v30, v66, v30
	v_add_f16_e32 v99, v104, v99
	v_fma_f16 v104, v83, 0x388b, -v140
	v_add_f16_e32 v24, v25, v24
	v_add_f16_e64 v155, v155, v60
	v_fma_f16 v167, 0x3a95, v74, v89
	v_mul_f16_e32 v91, 0x2fb7, v91
	v_add_f16_e32 v98, v112, v98
	v_add_f16_e32 v101, v123, v60
	v_fmac_f16_e32 v125, 0x394e, v74
	v_add_f16_e64 v105, v137, v60
	v_fmac_f16_e64 v139, 0xb3a8, v74
	v_add_f16_e32 v99, v104, v99
	v_add_f16_e32 v104, v109, v107
	v_add_f16_e64 v109, v151, v60
	v_fmac_f16_e64 v153, 0xbb7b, v74
	v_fma_f16 v112, v79, 0xb5ac, -v159
	v_add_f16_e32 v60, v88, v60
	v_fmac_f16_e32 v89, 0xba95, v74
	v_add_f16_e32 v23, v31, v23
	v_fma_f16 v25, v80, 0x2fb7, -v103
	v_add_f16_e32 v30, v65, v30
	v_add_f16_e32 v24, v26, v24
	v_add_f16_e64 v155, v167, v155
	v_fma_f16 v167, 0x3bf1, v61, v91
	v_mul_f16_e32 v92, 0xb5ac, v92
	v_fmac_f16_e32 v114, 0xba95, v61
	v_add_f16_e32 v101, v125, v101
	v_fmac_f16_e64 v128, 0x3770, v61
	v_add_f16_e64 v105, v139, v105
	v_fmac_f16_e64 v142, 0x3b7b, v61
	v_add_f16_e64 v109, v153, v109
	v_fmac_f16_e64 v156, 0xb3a8, v61
	v_add_f16_e32 v110, v112, v110
	v_fma_f16 v112, v80, 0xbbc4, -v162
	v_add_f16_e32 v32, v89, v60
	v_fmac_f16_e32 v91, 0xbbf1, v61
	v_add_f16_e32 v23, v25, v23
	v_add_f16_e32 v25, v64, v30
	v_add_f16_e32 v17, v17, v24
	v_add_f16_e64 v155, v167, v155
	v_fma_f16 v167, 0x3b7b, v62, v92
	v_mul_f16_e32 v94, 0xb9fd, v94
	v_add_f16_e32 v98, v114, v98
	v_fmac_f16_e32 v116, 0x33a8, v62
	v_add_f16_e64 v101, v128, v101
	v_fmac_f16_e64 v130, 0xbbf1, v62
	v_add_f16_e64 v105, v142, v105
	v_fmac_f16_e64 v144, 0x3770, v62
	v_fma_f16 v107, v81, 0x3b15, -v150
	v_add_f16_e64 v109, v156, v109
	v_fmac_f16_e64 v158, 0x394e, v62
	v_add_f16_e32 v27, v112, v110
	v_fma_f16 v73, v81, 0xb9fd, -v164
	v_add_f16_e32 v26, v91, v32
	v_fmac_f16_e32 v92, 0xbb7b, v62
	v_fma_f16 v24, v81, 0xb5ac, -v106
	v_add_f16_e32 v25, v38, v25
	v_add_f16_e32 v17, v18, v17
	v_add_f16_e64 v155, v167, v155
	v_fma_f16 v167, 0x394e, v75, v94
	v_mul_f16_e32 v102, 0xbbc4, v102
	v_add_f16_e32 v98, v116, v98
	v_fmac_f16_e32 v118, 0x3770, v75
	v_add_f16_e64 v101, v130, v101
	v_fmac_f16_e64 v132, 0x33a8, v75
	v_add_f16_e64 v105, v144, v105
	v_fmac_f16_e64 v146, 0xba95, v75
	v_add_f16_e32 v104, v107, v104
	v_fma_f16 v107, v82, 0x388b, -v152
	v_add_f16_e64 v109, v158, v109
	v_fmac_f16_e64 v160, 0x3bf1, v75
	v_add_f16_e32 v27, v73, v27
	v_fma_f16 v29, v82, 0x2fb7, -v165
	v_add_f16_e32 v26, v92, v26
	v_fmac_f16_e32 v94, 0xb94e, v75
	v_add_f16_e32 v18, v24, v23
	v_fma_f16 v23, v82, 0xb9fd, -v108
	v_add_f16_e32 v25, v37, v25
	v_add_f16_e32 v17, v36, v17
	v_add_f16_e64 v155, v167, v155
	v_fma_f16 v167, 0x33a8, v77, v102
	v_add_f16_e32 v98, v118, v98
	v_fmac_f16_e32 v121, 0xbb7b, v77
	v_add_f16_e64 v101, v132, v101
	v_fmac_f16_e64 v135, 0x3a95, v77
	v_add_f16_e64 v105, v146, v105
	v_fmac_f16_e64 v149, 0xb94e, v77
	v_add_f16_e32 v104, v107, v104
	v_fma_f16 v107, v83, 0xb9fd, -v154
	v_add_f16_e64 v28, v160, v109
	v_fmac_f16_e64 v163, 0x3770, v77
	v_add_f16_e32 v27, v29, v27
	v_fma_f16 v29, v83, 0x3b15, -v166
	v_add_f16_e32 v24, v94, v26
	v_fmac_f16_e32 v102, 0xb3a8, v77
	v_add_f16_e32 v18, v23, v18
	v_fma_f16 v23, v83, 0xbbc4, -v111
	v_lshlrev_b32_e32 v25, 16, v25
	v_and_b32_e32 v17, 0xffff, v17
	v_and_b32_e32 v26, 0xffff, v35
	v_add_f16_e64 v155, v167, v155
	v_add_f16_e32 v98, v121, v98
	v_add_f16_e64 v101, v135, v101
	v_add_f16_e64 v105, v149, v105
	v_add_f16_e32 v71, v107, v104
	v_add_f16_e64 v28, v163, v28
	v_add_f16_e32 v27, v29, v27
	v_add_f16_e32 v24, v102, v24
	;; [unrolled: 1-line block ×3, first 2 shown]
	v_or_b32_e32 v17, v25, v17
	v_lshlrev_b32_e32 v23, 2, v26
	v_pack_b32_f16 v25, v147, v141
	v_pack_b32_f16 v26, v93, v155
	v_pack_b32_f16 v29, v119, v87
	v_pack_b32_f16 v30, v133, v127
	v_pack_b32_f16 v31, v84, v76
	v_pack_b32_f16 v32, v86, v85
	v_pack_b32_f16 v35, v97, v98
	v_pack_b32_f16 v36, v95, v90
	v_pack_b32_f16 v37, v71, v105
	v_pack_b32_f16 v38, v99, v101
	v_pack_b32_f16 v18, v18, v24
	v_pack_b32_f16 v24, v27, v28
	ds_store_b32 v23, v17
	ds_store_2addr_b32 v23, v26, v25 offset0:1 offset1:2
	ds_store_2addr_b32 v23, v30, v29 offset0:3 offset1:4
	;; [unrolled: 1-line block ×6, first 2 shown]
.LBB0_13:
	s_wait_alu 0xfffe
	s_or_b32 exec_lo, exec_lo, s4
	v_add_nc_u32_e32 v18, 0x400, v33
	global_wb scope:SCOPE_SE
	s_wait_dscnt 0x0
	s_barrier_signal -1
	s_barrier_wait -1
	global_inv scope:SCOPE_SE
	ds_load_2addr_b32 v[25:26], v33 offset1:143
	ds_load_2addr_b32 v[27:28], v18 offset0:30 offset1:173
	v_add_nc_u32_e32 v23, 0x800, v33
	v_add_nc_u32_e32 v17, 0xc00, v33
	;; [unrolled: 1-line block ×3, first 2 shown]
	ds_load_b32 v37, v33 offset:5720
	ds_load_2addr_b32 v[29:30], v23 offset0:60 offset1:203
	ds_load_2addr_b32 v[31:32], v17 offset0:90 offset1:233
	;; [unrolled: 1-line block ×3, first 2 shown]
	global_wb scope:SCOPE_SE
	s_wait_dscnt 0x0
	s_barrier_signal -1
	s_barrier_wait -1
	global_inv scope:SCOPE_SE
	v_lshrrev_b32_e32 v38, 16, v26
	v_mul_f16_e32 v61, v59, v26
	v_lshrrev_b32_e32 v62, 16, v27
	v_lshrrev_b32_e32 v63, 16, v28
	v_mul_f16_e32 v70, v58, v28
	v_lshrrev_b32_e32 v64, 16, v29
	v_mul_f16_e32 v59, v59, v38
	v_fma_f16 v38, v4, v38, -v61
	v_mul_f16_e32 v61, v57, v27
	v_mul_f16_e32 v57, v57, v62
	v_lshrrev_b32_e32 v65, 16, v30
	v_fmac_f16_e32 v59, v4, v26
	v_mul_f16_e32 v26, v56, v64
	v_fma_f16 v4, v5, v62, -v61
	v_fmac_f16_e32 v57, v5, v27
	v_mul_f16_e32 v5, v56, v29
	v_lshrrev_b32_e32 v27, 16, v25
	v_mul_f16_e32 v58, v58, v63
	v_fmac_f16_e32 v26, v7, v29
	v_add_f16_e32 v29, v59, v25
	v_fma_f16 v5, v7, v64, -v5
	v_add_f16_e32 v7, v38, v27
	v_fmac_f16_e32 v58, v6, v28
	v_fma_f16 v6, v6, v63, -v70
	v_mul_f16_e32 v28, v55, v65
	v_add_f16_e32 v29, v29, v57
	v_add_f16_e32 v7, v7, v4
	v_lshrrev_b32_e32 v66, 16, v31
	v_lshrrev_b32_e32 v67, 16, v32
	v_fmac_f16_e32 v28, v0, v30
	v_mul_f16_e32 v30, v55, v30
	v_add_f16_e32 v7, v7, v6
	v_add_f16_e32 v29, v29, v58
	v_mul_f16_e32 v55, v54, v66
	v_mul_f16_e32 v54, v54, v31
	v_fma_f16 v0, v0, v65, -v30
	v_add_f16_e32 v7, v7, v5
	v_add_f16_e32 v29, v29, v26
	v_lshrrev_b32_e32 v68, 16, v35
	v_fmac_f16_e32 v55, v1, v31
	v_fma_f16 v1, v1, v66, -v54
	v_mul_f16_e32 v30, v53, v67
	v_mul_f16_e32 v31, v53, v32
	v_add_f16_e32 v7, v7, v0
	v_add_f16_e32 v29, v29, v28
	v_lshrrev_b32_e32 v69, 16, v36
	v_mul_f16_e32 v53, v52, v68
	v_fmac_f16_e32 v30, v2, v32
	v_fma_f16 v2, v2, v67, -v31
	v_mul_f16_e32 v31, v52, v35
	v_add_f16_e32 v7, v7, v1
	v_add_f16_e32 v29, v29, v55
	v_lshrrev_b32_e32 v60, 16, v37
	v_fmac_f16_e32 v53, v3, v35
	v_mul_f16_e32 v32, v51, v69
	v_mul_f16_e32 v35, v51, v36
	v_fma_f16 v3, v3, v68, -v31
	v_add_f16_e32 v7, v7, v2
	v_add_f16_e32 v29, v29, v30
	v_fmac_f16_e32 v32, v19, v36
	v_fma_f16 v19, v19, v69, -v35
	v_mul_f16_e32 v31, v50, v60
	v_mul_f16_e32 v35, v50, v37
	v_add_f16_e32 v7, v7, v3
	v_add_f16_e32 v29, v29, v53
	v_sub_f16_e32 v68, v4, v19
	v_fmac_f16_e32 v31, v20, v37
	v_fma_f16 v20, v20, v60, -v35
	v_add_f16_e32 v7, v7, v19
	v_add_f16_e32 v29, v29, v32
	;; [unrolled: 1-line block ×4, first 2 shown]
	v_sub_f16_e32 v35, v38, v20
	v_add_f16_e32 v7, v7, v20
	v_add_f16_e32 v29, v29, v31
	;; [unrolled: 1-line block ×3, first 2 shown]
	v_sub_f16_e32 v31, v59, v31
	v_mul_f16_e32 v37, 0xb853, v35
	v_lshlrev_b32_e32 v7, 16, v7
	v_and_b32_e32 v29, 0xffff, v29
	v_mul_f16_e32 v38, 0x3abb, v20
	v_mul_f16_e32 v54, 0x36a6, v20
	;; [unrolled: 1-line block ×4, first 2 shown]
	v_or_b32_e32 v7, v7, v29
	v_mul_f16_e32 v29, 0xbb47, v35
	v_mul_f16_e32 v63, 0xba0c, v35
	;; [unrolled: 1-line block ×5, first 2 shown]
	v_fmamk_f16 v50, v36, 0x3abb, v37
	v_fmamk_f16 v51, v31, 0x3853, v38
	v_fma_f16 v37, v36, 0x3abb, -v37
	v_fmac_f16_e32 v38, 0xb853, v31
	v_fmamk_f16 v52, v36, 0x36a6, v29
	v_fmamk_f16 v59, v31, 0x3b47, v54
	v_fma_f16 v29, v36, 0x36a6, -v29
	v_fmac_f16_e32 v54, 0xbb47, v31
	;; [unrolled: 4-line block ×4, first 2 shown]
	v_fmamk_f16 v67, v36, 0xbbad, v35
	v_fmamk_f16 v69, v31, 0x3482, v20
	v_fma_f16 v35, v36, 0xbbad, -v35
	v_add_f16_e32 v19, v57, v32
	v_mul_f16_e32 v36, 0xbb47, v68
	v_fmac_f16_e32 v20, 0xb482, v31
	v_sub_f16_e32 v31, v57, v32
	v_mul_f16_e32 v32, 0x36a6, v4
	v_add_f16_e32 v50, v50, v25
	v_add_f16_e32 v51, v51, v27
	;; [unrolled: 1-line block ×18, first 2 shown]
	v_fmamk_f16 v69, v19, 0x36a6, v36
	v_add_f16_e32 v25, v35, v25
	v_add_f16_e32 v20, v20, v27
	v_fmamk_f16 v27, v31, 0x3b47, v32
	v_mul_f16_e32 v35, 0xba0c, v68
	v_add_f16_e32 v50, v69, v50
	v_fma_f16 v36, v19, 0x36a6, -v36
	v_fmac_f16_e32 v32, 0xbb47, v31
	v_add_f16_e32 v27, v27, v51
	v_fmamk_f16 v51, v19, 0xb93d, v35
	v_mul_f16_e32 v69, 0xb93d, v4
	v_add_f16_e32 v36, v36, v37
	v_add_f16_e32 v32, v32, v38
	v_mul_f16_e32 v37, 0x3482, v68
	v_add_f16_e32 v38, v51, v52
	v_fmamk_f16 v51, v31, 0x3a0c, v69
	v_fma_f16 v35, v19, 0xb93d, -v35
	v_fmac_f16_e32 v69, 0xba0c, v31
	v_mul_f16_e32 v70, 0xbbad, v4
	v_fmamk_f16 v52, v19, 0xbbad, v37
	v_add_f16_e32 v51, v51, v59
	v_add_f16_e32 v29, v35, v29
	;; [unrolled: 1-line block ×3, first 2 shown]
	v_fmamk_f16 v54, v31, 0xb482, v70
	v_mul_f16_e32 v59, 0x3beb, v68
	v_add_f16_e32 v52, v52, v61
	v_fma_f16 v37, v19, 0xbbad, -v37
	v_mul_f16_e32 v61, 0xb08e, v4
	v_add_f16_e32 v54, v54, v62
	v_fmamk_f16 v62, v19, 0xb08e, v59
	v_mul_f16_e32 v68, 0x3853, v68
	v_fma_f16 v59, v19, 0xb08e, -v59
	v_add_f16_e32 v37, v37, v56
	v_fmamk_f16 v56, v31, 0xbbeb, v61
	v_add_f16_e32 v62, v62, v65
	v_fmac_f16_e32 v61, 0x3beb, v31
	v_fmamk_f16 v65, v19, 0x3abb, v68
	v_add_f16_e32 v59, v59, v63
	v_sub_f16_e32 v63, v6, v3
	v_add_f16_e32 v56, v56, v66
	v_mul_f16_e32 v4, 0x3abb, v4
	v_add_f16_e32 v61, v61, v64
	v_add_f16_e32 v64, v65, v67
	;; [unrolled: 1-line block ×3, first 2 shown]
	v_mul_f16_e32 v67, 0xbbeb, v63
	v_add_f16_e32 v3, v6, v3
	v_fmac_f16_e32 v70, 0x3482, v31
	v_fmamk_f16 v65, v31, 0xb853, v4
	v_fma_f16 v6, v19, 0x3abb, -v68
	v_fmac_f16_e32 v4, 0x3853, v31
	v_sub_f16_e32 v19, v58, v53
	v_fmamk_f16 v31, v66, 0xb08e, v67
	v_mul_f16_e32 v53, 0xb08e, v3
	v_add_f16_e32 v6, v6, v25
	v_add_f16_e32 v4, v4, v20
	v_mul_f16_e32 v58, 0xbbad, v3
	v_add_f16_e32 v20, v31, v50
	v_fmamk_f16 v25, v19, 0x3beb, v53
	v_mul_f16_e32 v31, 0x3482, v63
	v_fma_f16 v50, v66, 0xb08e, -v67
	v_fmac_f16_e32 v53, 0xbbeb, v19
	v_add_f16_e32 v57, v65, v57
	v_add_f16_e32 v25, v25, v27
	v_fmamk_f16 v27, v66, 0xbbad, v31
	v_add_f16_e32 v36, v50, v36
	v_add_f16_e32 v32, v53, v32
	v_fmamk_f16 v50, v19, 0xb482, v58
	v_mul_f16_e32 v53, 0x3b47, v63
	v_add_f16_e32 v27, v27, v38
	v_fma_f16 v31, v66, 0xbbad, -v31
	v_fmac_f16_e32 v58, 0x3482, v19
	v_add_f16_e32 v38, v50, v51
	v_fmamk_f16 v50, v66, 0x36a6, v53
	v_mul_f16_e32 v51, 0x36a6, v3
	v_add_f16_e32 v29, v31, v29
	v_add_f16_e32 v31, v58, v35
	v_mul_f16_e32 v35, 0xb853, v63
	v_add_f16_e32 v50, v50, v52
	v_fmamk_f16 v52, v19, 0xbb47, v51
	v_mul_f16_e32 v65, 0x3abb, v3
	v_add_f16_e32 v60, v70, v60
	v_fma_f16 v53, v66, 0x36a6, -v53
	v_fmac_f16_e32 v51, 0x3b47, v19
	v_fmamk_f16 v58, v66, 0x3abb, v35
	v_add_f16_e32 v52, v52, v54
	v_fmamk_f16 v54, v19, 0x3853, v65
	v_mul_f16_e32 v3, 0xb93d, v3
	v_fma_f16 v35, v66, 0x3abb, -v35
	v_fmac_f16_e32 v65, 0xb853, v19
	v_add_f16_e32 v37, v53, v37
	v_add_f16_e32 v51, v51, v60
	;; [unrolled: 1-line block ×3, first 2 shown]
	v_mul_f16_e32 v58, 0xba0c, v63
	v_fmamk_f16 v60, v19, 0x3a0c, v3
	v_add_f16_e32 v35, v35, v59
	v_add_f16_e32 v59, v65, v61
	v_sub_f16_e32 v61, v5, v2
	v_add_f16_e32 v2, v5, v2
	v_add_f16_e32 v54, v54, v56
	v_fmamk_f16 v56, v66, 0xb93d, v58
	v_add_f16_e32 v57, v60, v57
	v_add_f16_e32 v60, v26, v30
	v_mul_f16_e32 v5, 0xba0c, v61
	v_fma_f16 v58, v66, 0xb93d, -v58
	v_fmac_f16_e32 v3, 0xba0c, v19
	v_sub_f16_e32 v19, v26, v30
	v_mul_f16_e32 v26, 0xb93d, v2
	v_fmamk_f16 v30, v60, 0xb93d, v5
	v_add_f16_e32 v6, v58, v6
	v_add_f16_e32 v3, v3, v4
	v_mul_f16_e32 v4, 0x3beb, v61
	v_fmamk_f16 v58, v19, 0x3a0c, v26
	v_add_f16_e32 v20, v30, v20
	v_fma_f16 v5, v60, 0xb93d, -v5
	v_fmac_f16_e32 v26, 0xba0c, v19
	v_fmamk_f16 v30, v60, 0xb08e, v4
	v_add_f16_e32 v25, v58, v25
	v_mul_f16_e32 v58, 0xb08e, v2
	v_add_f16_e32 v5, v5, v36
	v_add_f16_e32 v26, v26, v32
	;; [unrolled: 1-line block ×3, first 2 shown]
	v_mul_f16_e32 v30, 0xb853, v61
	v_fmamk_f16 v32, v19, 0xbbeb, v58
	v_fma_f16 v4, v60, 0xb08e, -v4
	v_fmac_f16_e32 v58, 0x3beb, v19
	v_mul_f16_e32 v36, 0x3abb, v2
	v_fmamk_f16 v62, v60, 0x3abb, v30
	v_add_f16_e32 v32, v32, v38
	v_add_f16_e32 v4, v4, v29
	;; [unrolled: 1-line block ×3, first 2 shown]
	v_fmamk_f16 v31, v19, 0x3853, v36
	v_add_f16_e32 v38, v62, v50
	v_mul_f16_e32 v50, 0xb482, v61
	v_fma_f16 v30, v60, 0x3abb, -v30
	v_fmac_f16_e32 v36, 0xb853, v19
	v_add_f16_e32 v31, v31, v52
	v_mul_f16_e32 v52, 0xbbad, v2
	v_fmamk_f16 v58, v60, 0xbbad, v50
	v_add_f16_e32 v30, v30, v37
	v_add_f16_e32 v36, v36, v51
	v_mul_f16_e32 v37, 0x3b47, v61
	v_fmamk_f16 v51, v19, 0x3482, v52
	v_add_f16_e32 v56, v56, v64
	v_add_f16_e32 v53, v58, v53
	v_fma_f16 v50, v60, 0xbbad, -v50
	v_fmac_f16_e32 v52, 0xb482, v19
	v_fmamk_f16 v58, v60, 0x36a6, v37
	v_add_f16_e32 v51, v51, v54
	v_mul_f16_e32 v2, 0x36a6, v2
	v_sub_f16_e32 v54, v0, v1
	v_add_f16_e32 v0, v0, v1
	v_add_f16_e32 v35, v50, v35
	;; [unrolled: 1-line block ×4, first 2 shown]
	v_fmamk_f16 v56, v19, 0xbb47, v2
	v_fma_f16 v37, v60, 0x36a6, -v37
	v_add_f16_e32 v1, v28, v55
	v_mul_f16_e32 v58, 0xb482, v54
	v_fmac_f16_e32 v2, 0x3b47, v19
	v_sub_f16_e32 v19, v28, v55
	v_mul_f16_e32 v28, 0xbbad, v0
	v_add_f16_e32 v55, v56, v57
	v_fmamk_f16 v56, v1, 0xbbad, v58
	v_add_f16_e32 v6, v37, v6
	v_add_f16_e32 v2, v2, v3
	v_fmamk_f16 v3, v19, 0x3482, v28
	v_mul_f16_e32 v37, 0x3853, v54
	v_fmac_f16_e32 v28, 0xb482, v19
	v_add_f16_e32 v20, v56, v20
	v_fma_f16 v56, v1, 0xbbad, -v58
	v_add_f16_e32 v3, v3, v25
	v_fmamk_f16 v25, v1, 0x3abb, v37
	v_mul_f16_e32 v57, 0x3abb, v0
	v_add_f16_e32 v26, v28, v26
	v_mul_f16_e32 v28, 0xba0c, v54
	v_add_f16_e32 v5, v56, v5
	v_add_f16_e32 v25, v25, v27
	v_fmamk_f16 v27, v19, 0xb853, v57
	v_fma_f16 v37, v1, 0x3abb, -v37
	v_fmamk_f16 v56, v1, 0xb93d, v28
	v_mul_f16_e32 v58, 0xb93d, v0
	v_fma_f16 v28, v1, 0xb93d, -v28
	v_add_f16_e32 v27, v27, v32
	v_add_f16_e32 v4, v37, v4
	;; [unrolled: 1-line block ×3, first 2 shown]
	v_fmamk_f16 v37, v19, 0x3a0c, v58
	v_mul_f16_e32 v38, 0x3b47, v54
	v_fmac_f16_e32 v58, 0xba0c, v19
	v_mul_f16_e32 v56, 0x36a6, v0
	v_add_f16_e32 v28, v28, v30
	v_add_f16_e32 v31, v37, v31
	v_fmamk_f16 v37, v1, 0x36a6, v38
	v_add_f16_e32 v30, v58, v36
	v_fmamk_f16 v36, v19, 0xbb47, v56
	v_mul_f16_e32 v0, 0xb08e, v0
	v_fma_f16 v38, v1, 0x36a6, -v38
	v_add_f16_e32 v37, v37, v53
	v_mul_f16_e32 v53, 0xbbeb, v54
	v_add_f16_e32 v36, v36, v51
	v_fmamk_f16 v51, v19, 0x3beb, v0
	v_fmac_f16_e32 v0, 0xbbeb, v19
	v_add_f16_e32 v35, v38, v35
	v_fmac_f16_e32 v56, 0x3b47, v19
	v_fmamk_f16 v38, v1, 0xb08e, v53
	v_fma_f16 v1, v1, 0xb08e, -v53
	v_fmac_f16_e32 v57, 0x3853, v19
	v_add_f16_e32 v0, v0, v2
	v_pack_b32_f16 v2, v20, v3
	v_add_f16_e32 v19, v56, v50
	v_add_f16_e32 v38, v38, v52
	v_add_f16_e32 v50, v51, v55
	v_add_f16_e32 v1, v1, v6
	v_add_f16_e32 v29, v57, v29
	ds_store_2addr_b32 v39, v7, v2 offset1:13
	v_pack_b32_f16 v2, v25, v27
	v_pack_b32_f16 v3, v32, v31
	v_pack_b32_f16 v6, v37, v36
	v_pack_b32_f16 v7, v38, v50
	v_pack_b32_f16 v0, v1, v0
	v_pack_b32_f16 v1, v35, v19
	v_pack_b32_f16 v19, v28, v30
	v_pack_b32_f16 v4, v4, v29
	v_pack_b32_f16 v5, v5, v26
	ds_store_2addr_b32 v39, v2, v3 offset0:26 offset1:39
	ds_store_2addr_b32 v39, v6, v7 offset0:52 offset1:65
	;; [unrolled: 1-line block ×4, first 2 shown]
	ds_store_b32 v39, v5 offset:520
	global_wb scope:SCOPE_SE
	s_wait_dscnt 0x0
	s_barrier_signal -1
	s_barrier_wait -1
	global_inv scope:SCOPE_SE
	ds_load_2addr_b32 v[0:1], v33 offset1:143
	ds_load_2addr_b32 v[2:3], v18 offset0:30 offset1:173
	ds_load_2addr_b32 v[4:5], v23 offset0:60 offset1:203
	;; [unrolled: 1-line block ×4, first 2 shown]
	ds_load_b32 v25, v33 offset:5720
	s_wait_dscnt 0x5
	v_lshrrev_b32_e32 v26, 16, v1
	s_wait_dscnt 0x4
	v_lshrrev_b32_e32 v27, 16, v2
	v_lshrrev_b32_e32 v28, 16, v3
	s_wait_dscnt 0x3
	v_lshrrev_b32_e32 v29, 16, v4
	v_mul_f16_e32 v38, v49, v1
	v_mul_f16_e32 v37, v49, v26
	;; [unrolled: 1-line block ×4, first 2 shown]
	v_lshrrev_b32_e32 v30, 16, v5
	s_wait_dscnt 0x2
	v_lshrrev_b32_e32 v31, 16, v6
	v_fmac_f16_e32 v37, v12, v1
	v_fmac_f16_e32 v39, v13, v2
	v_mul_f16_e32 v2, v47, v28
	v_fma_f16 v1, v12, v26, -v38
	v_fma_f16 v12, v13, v27, -v48
	v_mul_f16_e32 v13, v47, v3
	v_mul_f16_e32 v26, v46, v29
	v_lshrrev_b32_e32 v27, 16, v0
	v_fmac_f16_e32 v2, v14, v3
	v_mul_f16_e32 v3, v46, v4
	v_fma_f16 v13, v14, v28, -v13
	v_fmac_f16_e32 v26, v15, v4
	v_add_f16_e32 v4, v1, v27
	v_mul_f16_e32 v14, v45, v30
	v_fma_f16 v3, v15, v29, -v3
	v_mul_f16_e32 v15, v45, v5
	v_add_f16_e32 v28, v37, v0
	v_lshrrev_b32_e32 v32, 16, v7
	v_add_f16_e32 v4, v4, v12
	v_fmac_f16_e32 v14, v8, v5
	v_mul_f16_e32 v5, v44, v31
	v_fma_f16 v8, v8, v30, -v15
	v_add_f16_e32 v15, v28, v39
	v_add_f16_e32 v4, v4, v13
	v_mul_f16_e32 v28, v44, v6
	v_fmac_f16_e32 v5, v9, v6
	v_mul_f16_e32 v6, v43, v32
	v_add_f16_e32 v15, v15, v2
	v_add_f16_e32 v4, v4, v3
	v_fma_f16 v9, v9, v31, -v28
	v_mul_f16_e32 v28, v43, v7
	v_fmac_f16_e32 v6, v10, v7
	v_add_f16_e32 v7, v15, v26
	s_wait_dscnt 0x1
	v_lshrrev_b32_e32 v35, 16, v19
	v_add_f16_e32 v4, v4, v8
	v_lshrrev_b32_e32 v36, 16, v20
	v_fma_f16 v10, v10, v32, -v28
	v_add_f16_e32 v7, v7, v14
	v_mul_f16_e32 v15, v42, v35
	v_mul_f16_e32 v28, v42, v19
	v_add_f16_e32 v4, v4, v9
	s_wait_dscnt 0x0
	v_lshrrev_b32_e32 v49, 16, v25
	v_add_f16_e32 v7, v7, v5
	v_fmac_f16_e32 v15, v11, v19
	v_mul_f16_e32 v19, v41, v20
	v_fma_f16 v11, v11, v35, -v28
	v_add_f16_e32 v4, v4, v10
	v_mul_f16_e32 v28, v41, v36
	v_mul_f16_e32 v29, v40, v25
	v_add_f16_e32 v7, v7, v6
	v_fma_f16 v19, v21, v36, -v19
	v_add_f16_e32 v4, v4, v11
	v_fmac_f16_e32 v28, v21, v20
	v_mul_f16_e32 v20, v40, v49
	v_fma_f16 v21, v22, v49, -v29
	v_add_f16_e32 v7, v7, v15
	v_add_f16_e32 v4, v4, v19
	v_sub_f16_e32 v47, v12, v19
	v_fmac_f16_e32 v20, v22, v25
	v_sub_f16_e32 v22, v1, v21
	v_add_f16_e32 v7, v7, v28
	v_add_f16_e32 v4, v4, v21
	;; [unrolled: 1-line block ×4, first 2 shown]
	v_mul_f16_e32 v25, 0xb853, v22
	v_add_f16_e32 v7, v7, v20
	v_lshlrev_b32_e32 v4, 16, v4
	v_sub_f16_e32 v20, v37, v20
	v_mul_f16_e32 v29, 0x3abb, v1
	v_fmamk_f16 v30, v21, 0x3abb, v25
	v_and_b32_e32 v7, 0xffff, v7
	v_mul_f16_e32 v31, 0xbb47, v22
	v_mul_f16_e32 v35, 0x36a6, v1
	;; [unrolled: 1-line block ×8, first 2 shown]
	v_add_f16_e32 v49, v39, v28
	v_mul_f16_e32 v50, 0xbb47, v47
	v_add_f16_e32 v12, v12, v19
	v_or_b32_e32 v4, v4, v7
	v_fmamk_f16 v7, v20, 0x3853, v29
	v_add_f16_e32 v30, v30, v0
	v_fma_f16 v25, v21, 0x3abb, -v25
	v_fmac_f16_e32 v29, 0xb853, v20
	v_fmamk_f16 v32, v21, 0x36a6, v31
	v_fmamk_f16 v37, v20, 0x3b47, v35
	v_fma_f16 v31, v21, 0x36a6, -v31
	v_fmac_f16_e32 v35, 0xbb47, v20
	v_fmamk_f16 v38, v21, 0xb08e, v36
	v_fmamk_f16 v41, v20, 0x3beb, v40
	;; [unrolled: 4-line block ×4, first 2 shown]
	v_fma_f16 v19, v21, 0xbbad, -v22
	v_fmac_f16_e32 v1, 0xb482, v20
	v_sub_f16_e32 v20, v39, v28
	v_fmamk_f16 v21, v49, 0x36a6, v50
	v_mul_f16_e32 v22, 0x36a6, v12
	v_add_f16_e32 v7, v7, v27
	v_add_f16_e32 v25, v25, v0
	;; [unrolled: 1-line block ×20, first 2 shown]
	v_fmamk_f16 v21, v20, 0x3b47, v22
	v_mul_f16_e32 v27, 0xba0c, v47
	v_fma_f16 v30, v49, 0x36a6, -v50
	v_fmac_f16_e32 v22, 0xbb47, v20
	v_mul_f16_e32 v39, 0xb93d, v12
	v_add_f16_e32 v7, v21, v7
	v_fmamk_f16 v21, v49, 0xb93d, v27
	v_add_f16_e32 v25, v30, v25
	v_add_f16_e32 v22, v22, v29
	v_fmamk_f16 v29, v20, 0x3a0c, v39
	v_mul_f16_e32 v30, 0x3482, v47
	v_fma_f16 v27, v49, 0xb93d, -v27
	v_fmac_f16_e32 v39, 0xba0c, v20
	v_add_f16_e32 v21, v21, v32
	v_add_f16_e32 v29, v29, v37
	v_fmamk_f16 v32, v49, 0xbbad, v30
	v_mul_f16_e32 v37, 0xbbad, v12
	v_add_f16_e32 v27, v27, v31
	v_add_f16_e32 v31, v39, v35
	v_mul_f16_e32 v35, 0x3beb, v47
	v_add_f16_e32 v32, v32, v38
	v_fmamk_f16 v38, v20, 0xb482, v37
	v_fma_f16 v30, v49, 0xbbad, -v30
	v_fmac_f16_e32 v37, 0x3482, v20
	v_fmamk_f16 v39, v49, 0xb08e, v35
	v_mul_f16_e32 v48, 0xb08e, v12
	v_mul_f16_e32 v12, 0x3abb, v12
	v_add_f16_e32 v30, v30, v36
	v_add_f16_e32 v36, v37, v40
	;; [unrolled: 1-line block ×3, first 2 shown]
	v_fmamk_f16 v39, v20, 0xbbeb, v48
	v_fma_f16 v35, v49, 0xb08e, -v35
	v_fmac_f16_e32 v48, 0x3beb, v20
	v_mul_f16_e32 v40, 0x3853, v47
	v_fmamk_f16 v44, v20, 0xb853, v12
	v_add_f16_e32 v38, v38, v41
	v_add_f16_e32 v35, v35, v42
	;; [unrolled: 1-line block ×3, first 2 shown]
	v_sub_f16_e32 v43, v13, v11
	v_add_f16_e32 v11, v13, v11
	v_fmamk_f16 v41, v49, 0x3abb, v40
	v_add_f16_e32 v28, v44, v28
	v_add_f16_e32 v44, v2, v15
	v_mul_f16_e32 v13, 0xbbeb, v43
	v_fma_f16 v40, v49, 0x3abb, -v40
	v_fmac_f16_e32 v12, 0x3853, v20
	v_sub_f16_e32 v2, v2, v15
	v_mul_f16_e32 v15, 0xb08e, v11
	v_fmamk_f16 v20, v44, 0xb08e, v13
	v_add_f16_e32 v0, v40, v0
	v_add_f16_e32 v1, v12, v1
	v_mul_f16_e32 v12, 0x3482, v43
	v_fmamk_f16 v40, v2, 0x3beb, v15
	v_add_f16_e32 v19, v20, v19
	v_fma_f16 v13, v44, 0xb08e, -v13
	v_fmac_f16_e32 v15, 0xbbeb, v2
	v_fmamk_f16 v20, v44, 0xbbad, v12
	v_add_f16_e32 v7, v40, v7
	v_mul_f16_e32 v40, 0xbbad, v11
	v_add_f16_e32 v13, v13, v25
	v_add_f16_e32 v15, v15, v22
	;; [unrolled: 1-line block ×3, first 2 shown]
	v_mul_f16_e32 v21, 0x3b47, v43
	v_fmamk_f16 v22, v2, 0xb482, v40
	v_mul_f16_e32 v25, 0x36a6, v11
	v_add_f16_e32 v39, v39, v45
	v_fma_f16 v12, v44, 0xbbad, -v12
	v_fmac_f16_e32 v40, 0x3482, v2
	v_fmamk_f16 v45, v44, 0x36a6, v21
	v_add_f16_e32 v22, v22, v29
	v_fmamk_f16 v29, v2, 0xbb47, v25
	v_add_f16_e32 v12, v12, v27
	v_add_f16_e32 v27, v40, v31
	;; [unrolled: 1-line block ×3, first 2 shown]
	v_mul_f16_e32 v32, 0xb853, v43
	v_fma_f16 v21, v44, 0x36a6, -v21
	v_fmac_f16_e32 v25, 0x3b47, v2
	v_add_f16_e32 v29, v29, v38
	v_mul_f16_e32 v38, 0x3abb, v11
	v_fmamk_f16 v40, v44, 0x3abb, v32
	v_add_f16_e32 v21, v21, v30
	v_add_f16_e32 v25, v25, v36
	v_mul_f16_e32 v30, 0xba0c, v43
	v_fmamk_f16 v36, v2, 0x3853, v38
	v_add_f16_e32 v41, v41, v46
	v_add_f16_e32 v37, v40, v37
	v_fma_f16 v32, v44, 0x3abb, -v32
	v_fmac_f16_e32 v38, 0xb853, v2
	v_fmamk_f16 v40, v44, 0xb93d, v30
	v_add_f16_e32 v36, v36, v39
	v_mul_f16_e32 v11, 0xb93d, v11
	v_sub_f16_e32 v39, v3, v10
	v_add_f16_e32 v3, v3, v10
	v_add_f16_e32 v32, v32, v35
	;; [unrolled: 1-line block ×4, first 2 shown]
	v_fmamk_f16 v40, v2, 0x3a0c, v11
	v_fma_f16 v30, v44, 0xb93d, -v30
	v_add_f16_e32 v10, v26, v6
	v_mul_f16_e32 v41, 0xba0c, v39
	v_fmac_f16_e32 v11, 0xba0c, v2
	v_sub_f16_e32 v2, v26, v6
	v_mul_f16_e32 v6, 0xb93d, v3
	v_add_f16_e32 v26, v40, v28
	v_fmamk_f16 v28, v10, 0xb93d, v41
	v_add_f16_e32 v0, v30, v0
	v_add_f16_e32 v1, v11, v1
	v_fmamk_f16 v11, v2, 0x3a0c, v6
	v_mul_f16_e32 v30, 0x3beb, v39
	v_fmac_f16_e32 v6, 0xba0c, v2
	v_add_f16_e32 v19, v28, v19
	v_fma_f16 v28, v10, 0xb93d, -v41
	v_add_f16_e32 v7, v11, v7
	v_fmamk_f16 v11, v10, 0xb08e, v30
	v_mul_f16_e32 v40, 0xb08e, v3
	v_add_f16_e32 v6, v6, v15
	v_mul_f16_e32 v15, 0xb853, v39
	v_add_f16_e32 v13, v28, v13
	v_add_f16_e32 v11, v11, v20
	v_fmamk_f16 v20, v2, 0xbbeb, v40
	v_fma_f16 v28, v10, 0xb08e, -v30
	v_fmac_f16_e32 v40, 0x3beb, v2
	v_fmamk_f16 v30, v10, 0x3abb, v15
	v_mul_f16_e32 v41, 0x3abb, v3
	v_add_f16_e32 v20, v20, v22
	v_add_f16_e32 v12, v28, v12
	;; [unrolled: 1-line block ×4, first 2 shown]
	v_fmamk_f16 v28, v2, 0x3853, v41
	v_mul_f16_e32 v30, 0xb482, v39
	v_fma_f16 v15, v10, 0x3abb, -v15
	v_mul_f16_e32 v31, 0xbbad, v3
	v_mul_f16_e32 v39, 0x3b47, v39
	v_add_f16_e32 v28, v28, v29
	v_fmamk_f16 v29, v10, 0xbbad, v30
	v_add_f16_e32 v15, v15, v21
	v_fmamk_f16 v21, v2, 0x3482, v31
	v_fma_f16 v30, v10, 0xbbad, -v30
	v_fmac_f16_e32 v31, 0xb482, v2
	v_add_f16_e32 v29, v29, v37
	v_mul_f16_e32 v3, 0x36a6, v3
	v_add_f16_e32 v21, v21, v36
	v_fmamk_f16 v36, v10, 0x36a6, v39
	v_add_f16_e32 v30, v30, v32
	v_sub_f16_e32 v32, v8, v9
	v_add_f16_e32 v31, v31, v35
	v_add_f16_e32 v37, v14, v5
	;; [unrolled: 1-line block ×4, first 2 shown]
	v_mul_f16_e32 v38, 0xb482, v32
	v_fmac_f16_e32 v41, 0xb853, v2
	v_fmamk_f16 v36, v2, 0xbb47, v3
	v_fma_f16 v9, v10, 0x36a6, -v39
	v_fmac_f16_e32 v3, 0x3b47, v2
	v_sub_f16_e32 v2, v14, v5
	v_fmamk_f16 v5, v37, 0xbbad, v38
	v_mul_f16_e32 v10, 0xbbad, v8
	v_add_f16_e32 v14, v36, v26
	v_add_f16_e32 v0, v9, v0
	;; [unrolled: 1-line block ×4, first 2 shown]
	v_fmamk_f16 v5, v2, 0x3482, v10
	v_mul_f16_e32 v9, 0x3853, v32
	v_fma_f16 v19, v37, 0xbbad, -v38
	v_fmac_f16_e32 v10, 0xb482, v2
	v_mul_f16_e32 v26, 0x3abb, v8
	v_add_f16_e32 v5, v5, v7
	v_fmamk_f16 v7, v37, 0x3abb, v9
	v_add_f16_e32 v13, v19, v13
	v_add_f16_e32 v6, v10, v6
	v_fmamk_f16 v10, v2, 0xb853, v26
	v_mul_f16_e32 v19, 0xba0c, v32
	v_fma_f16 v9, v37, 0x3abb, -v9
	v_fmac_f16_e32 v26, 0x3853, v2
	v_add_f16_e32 v7, v7, v11
	v_add_f16_e32 v10, v10, v20
	v_fmamk_f16 v11, v37, 0xb93d, v19
	v_mul_f16_e32 v20, 0xb93d, v8
	v_add_f16_e32 v9, v9, v12
	v_add_f16_e32 v12, v26, v22
	v_mul_f16_e32 v22, 0x3b47, v32
	v_add_f16_e32 v25, v41, v25
	v_add_f16_e32 v11, v11, v27
	v_fmamk_f16 v26, v2, 0x3a0c, v20
	v_fma_f16 v19, v37, 0xb93d, -v19
	v_fmac_f16_e32 v20, 0xba0c, v2
	v_fmamk_f16 v27, v37, 0x36a6, v22
	v_mul_f16_e32 v36, 0x36a6, v8
	v_mul_f16_e32 v8, 0xb08e, v8
	v_add_f16_e32 v15, v19, v15
	v_add_f16_e32 v19, v20, v25
	;; [unrolled: 1-line block ×3, first 2 shown]
	v_mul_f16_e32 v27, 0xbbeb, v32
	v_add_f16_e32 v26, v26, v28
	v_fmamk_f16 v25, v2, 0xbb47, v36
	v_fmamk_f16 v29, v2, 0x3beb, v8
	v_fma_f16 v22, v37, 0x36a6, -v22
	v_fmamk_f16 v28, v37, 0xb08e, v27
	v_fmac_f16_e32 v36, 0x3b47, v2
	v_fma_f16 v27, v37, 0xb08e, -v27
	v_fmac_f16_e32 v8, 0xbbeb, v2
	v_pack_b32_f16 v2, v3, v5
	v_add_f16_e32 v21, v25, v21
	v_add_f16_e32 v3, v28, v35
	;; [unrolled: 1-line block ×7, first 2 shown]
	ds_store_2addr_b32 v33, v4, v2 offset1:143
	v_pack_b32_f16 v2, v7, v10
	v_pack_b32_f16 v4, v11, v26
	v_pack_b32_f16 v7, v20, v21
	v_pack_b32_f16 v3, v3, v5
	v_pack_b32_f16 v0, v0, v1
	v_pack_b32_f16 v1, v22, v25
	v_pack_b32_f16 v5, v15, v19
	v_pack_b32_f16 v8, v9, v12
	v_pack_b32_f16 v6, v13, v6
	ds_store_2addr_b32 v18, v2, v4 offset0:30 offset1:173
	ds_store_2addr_b32 v23, v7, v3 offset0:60 offset1:203
	;; [unrolled: 1-line block ×4, first 2 shown]
	ds_store_b32 v33, v6 offset:5720
	global_wb scope:SCOPE_SE
	s_wait_dscnt 0x0
	s_barrier_signal -1
	s_barrier_wait -1
	global_inv scope:SCOPE_SE
	s_and_b32 exec_lo, exec_lo, vcc_lo
	s_cbranch_execz .LBB0_15
; %bb.14:
	s_clause 0x6
	global_load_b32 v0, v33, s[20:21]
	global_load_b32 v15, v33, s[20:21] offset:484
	global_load_b32 v20, v33, s[20:21] offset:968
	;; [unrolled: 1-line block ×6, first 2 shown]
	ds_load_b32 v19, v33
	ds_load_2addr_b32 v[1:2], v33 offset0:121 offset1:242
	ds_load_2addr_b32 v[5:6], v18 offset0:107 offset1:228
	v_mad_co_u64_u32 v[3:4], null, s2, v16, 0
	v_mad_co_u64_u32 v[8:9], null, s0, v34, 0
	ds_load_2addr_b32 v[10:11], v23 offset0:93 offset1:214
	s_mov_b32 s24, 0x49b95e3b
	s_mov_b32 s25, 0x3f44d4df
	s_mul_u64 s[22:23], s[0:1], 0x1e4
	s_wait_dscnt 0x1
	v_mad_co_u64_u32 v[12:13], null, s3, v16, v[4:5]
	v_mov_b32_e32 v7, v9
	v_lshrrev_b32_e32 v16, 16, v2
	v_lshrrev_b32_e32 v23, 16, v5
	;; [unrolled: 1-line block ×3, first 2 shown]
	s_wait_dscnt 0x0
	v_lshrrev_b32_e32 v26, 16, v10
	v_lshrrev_b32_e32 v44, 16, v11
	v_mov_b32_e32 v4, v12
	v_mad_co_u64_u32 v[13:14], null, s1, v34, v[7:8]
	v_lshrrev_b32_e32 v7, 16, v19
	v_lshrrev_b32_e32 v14, 16, v1
	s_delay_alu instid0(VALU_DEP_3)
	v_mov_b32_e32 v9, v13
	v_lshlrev_b64_e32 v[12:13], 2, v[3:4]
	s_wait_loadcnt 0x6
	v_lshrrev_b32_e32 v3, 16, v0
	s_wait_loadcnt 0x5
	v_lshrrev_b32_e32 v4, 16, v15
	s_wait_loadcnt 0x4
	v_lshrrev_b32_e32 v18, 16, v20
	s_wait_loadcnt 0x3
	v_lshrrev_b32_e32 v27, 16, v21
	s_wait_loadcnt 0x2
	v_lshrrev_b32_e32 v28, 16, v22
	v_mul_f16_e32 v30, v7, v3
	v_mul_f16_e32 v3, v19, v3
	;; [unrolled: 1-line block ×5, first 2 shown]
	v_fmac_f16_e32 v30, v19, v0
	v_mul_f16_e32 v19, v16, v18
	v_fma_f16 v3, v0, v7, -v3
	v_fmac_f16_e32 v31, v1, v15
	v_fma_f16 v4, v15, v14, -v4
	v_cvt_f32_f16_e32 v18, v30
	v_fmac_f16_e32 v19, v2, v20
	v_cvt_f32_f16_e32 v3, v3
	v_cvt_f32_f16_e32 v14, v31
	;; [unrolled: 1-line block ×3, first 2 shown]
	v_cvt_f64_f32_e32 v[0:1], v18
	v_mul_f16_e32 v35, v23, v27
	v_cvt_f64_f32_e32 v[2:3], v3
	v_cvt_f64_f32_e32 v[14:15], v14
	v_mul_f16_e32 v27, v5, v27
	v_cvt_f32_f16_e32 v36, v19
	v_cvt_f64_f32_e32 v[18:19], v4
	v_fma_f16 v4, v20, v16, -v34
	s_wait_loadcnt 0x1
	v_lshrrev_b32_e32 v29, 16, v24
	v_mul_f16_e32 v7, v25, v28
	v_mul_f16_e32 v28, v6, v28
	v_fmac_f16_e32 v35, v5, v21
	v_fma_f16 v5, v21, v23, -v27
	v_cvt_f64_f32_e32 v[20:21], v36
	v_cvt_f32_f16_e32 v4, v4
	v_mul_f16_e32 v30, v26, v29
	v_mul_f16_e32 v29, v10, v29
	v_fmac_f16_e32 v7, v6, v22
	v_cvt_f32_f16_e32 v6, v35
	v_fma_f16 v16, v22, v25, -v28
	v_cvt_f64_f32_e32 v[22:23], v4
	s_wait_loadcnt 0x0
	v_lshrrev_b32_e32 v45, 16, v32
	v_fmac_f16_e32 v30, v10, v24
	v_fma_f16 v10, v24, v26, -v29
	v_cvt_f64_f32_e32 v[24:25], v6
	v_cvt_f32_f16_e32 v4, v5
	v_mul_f16_e32 v31, v44, v45
	v_cvt_f32_f16_e32 v5, v7
	v_cvt_f32_f16_e32 v6, v16
	;; [unrolled: 1-line block ×3, first 2 shown]
	v_cvt_f64_f32_e32 v[26:27], v4
	v_fmac_f16_e32 v31, v11, v32
	v_cvt_f64_f32_e32 v[28:29], v5
	v_cvt_f32_f16_e32 v4, v10
	v_cvt_f64_f32_e32 v[34:35], v7
	s_delay_alu instid0(VALU_DEP_4)
	v_cvt_f32_f16_e32 v10, v31
	v_cvt_f64_f32_e32 v[30:31], v6
	v_mul_f64_e32 v[40:41], s[24:25], v[0:1]
	v_lshlrev_b64_e32 v[0:1], 2, v[8:9]
	v_mul_f64_e32 v[8:9], s[24:25], v[2:3]
	v_add_co_u32 v2, vcc_lo, s8, v12
	v_add_co_ci_u32_e32 v3, vcc_lo, s9, v13, vcc_lo
	v_mul_f64_e32 v[12:13], s[24:25], v[14:15]
	v_mul_f64_e32 v[14:15], s[24:25], v[18:19]
	v_cvt_f64_f32_e32 v[38:39], v10
	v_add_co_u32 v18, vcc_lo, v2, v0
	v_mul_f16_e32 v0, v11, v45
	v_mul_f64_e32 v[20:21], s[24:25], v[20:21]
	s_wait_alu 0xfffd
	v_add_co_ci_u32_e32 v19, vcc_lo, v3, v1, vcc_lo
	v_add_co_u32 v42, vcc_lo, v18, s22
	v_fma_f16 v0, v32, v44, -v0
	s_wait_alu 0xfffd
	s_delay_alu instid0(VALU_DEP_3)
	v_add_co_ci_u32_e32 v43, vcc_lo, s23, v19, vcc_lo
	v_mul_f64_e32 v[10:11], s[24:25], v[22:23]
	v_cvt_f64_f32_e32 v[36:37], v4
	v_cvt_f32_f16_e32 v16, v0
	v_mul_f64_e32 v[22:23], s[24:25], v[24:25]
	v_add_co_u32 v24, vcc_lo, v42, s22
	s_wait_alu 0xfffd
	v_add_co_ci_u32_e32 v25, vcc_lo, s23, v43, vcc_lo
	s_clause 0x3
	global_load_b32 v7, v33, s[20:21] offset:3388
	global_load_b32 v4, v33, s[20:21] offset:3872
	;; [unrolled: 1-line block ×4, first 2 shown]
	v_mul_f64_e32 v[26:27], s[24:25], v[26:27]
	v_add_co_u32 v44, vcc_lo, v24, s22
	v_mul_f64_e32 v[28:29], s[24:25], v[28:29]
	s_wait_alu 0xfffd
	v_add_co_ci_u32_e32 v45, vcc_lo, s23, v25, vcc_lo
	v_mul_f64_e32 v[34:35], s[24:25], v[34:35]
	v_mul_f64_e32 v[30:31], s[24:25], v[30:31]
	v_and_or_b32 v32, 0x1ff, v41, v40
	v_and_or_b32 v8, 0x1ff, v9, v8
	v_bfe_u32 v40, v9, 20, 11
	s_delay_alu instid0(VALU_DEP_3)
	v_cmp_ne_u32_e32 vcc_lo, 0, v32
	v_and_or_b32 v12, 0x1ff, v13, v12
	v_and_or_b32 v14, 0x1ff, v15, v14
	v_mul_f64_e32 v[0:1], s[24:25], v[38:39]
	s_wait_alu 0xfffd
	v_cndmask_b32_e64 v32, 0, 1, vcc_lo
	v_cmp_ne_u32_e32 vcc_lo, 0, v8
	v_lshrrev_b32_e32 v39, 8, v9
	v_and_or_b32 v20, 0x1ff, v21, v20
	v_lshrrev_b32_e32 v38, 16, v41
	v_bfe_u32 v46, v13, 20, 11
	s_wait_alu 0xfffd
	v_cndmask_b32_e64 v8, 0, 1, vcc_lo
	v_cmp_ne_u32_e32 vcc_lo, 0, v12
	v_bfe_u32 v48, v15, 20, 11
	v_sub_nc_u32_e32 v64, 0x3f1, v40
	v_add_nc_u32_e32 v40, 0xfffffc10, v40
	v_and_or_b32 v10, 0x1ff, v11, v10
	s_wait_alu 0xfffd
	v_cndmask_b32_e64 v12, 0, 1, vcc_lo
	v_cmp_ne_u32_e32 vcc_lo, 0, v14
	v_and_or_b32 v22, 0x1ff, v23, v22
	v_mul_f64_e32 v[2:3], s[24:25], v[36:37]
	v_lshrrev_b32_e32 v36, 8, v41
	v_bfe_u32 v37, v41, 20, 11
	s_wait_alu 0xfffd
	v_cndmask_b32_e64 v14, 0, 1, vcc_lo
	v_cmp_ne_u32_e32 vcc_lo, 0, v20
	v_and_or_b32 v26, 0x1ff, v27, v26
	v_and_or_b32 v32, 0xffe, v36, v32
	v_lshrrev_b32_e32 v41, 8, v13
	v_and_or_b32 v28, 0x1ff, v29, v28
	s_wait_alu 0xfffd
	v_cndmask_b32_e64 v20, 0, 1, vcc_lo
	v_cmp_ne_u32_e32 vcc_lo, 0, v10
	v_and_or_b32 v34, 0x1ff, v35, v34
	v_and_or_b32 v30, 0x1ff, v31, v30
	v_sub_nc_u32_e32 v63, 0x3f1, v37
	v_add_nc_u32_e32 v37, 0xfffffc10, v37
	s_wait_alu 0xfffd
	v_cndmask_b32_e64 v10, 0, 1, vcc_lo
	v_cmp_ne_u32_e32 vcc_lo, 0, v22
	v_and_or_b32 v8, 0xffe, v39, v8
	v_lshrrev_b32_e32 v47, 8, v15
	v_bfe_u32 v50, v21, 20, 11
	v_bfe_u32 v52, v11, 20, 11
	s_wait_alu 0xfffd
	v_cndmask_b32_e64 v22, 0, 1, vcc_lo
	v_cmp_ne_u32_e32 vcc_lo, 0, v26
	v_sub_nc_u32_e32 v65, 0x3f1, v46
	v_sub_nc_u32_e32 v66, 0x3f1, v48
	v_med3_i32 v36, v63, 0, 13
	v_med3_i32 v39, v64, 0, 13
	s_wait_alu 0xfffd
	v_cndmask_b32_e64 v26, 0, 1, vcc_lo
	v_cmp_ne_u32_e32 vcc_lo, 0, v28
	v_and_or_b32 v12, 0xffe, v41, v12
	v_or_b32_e32 v63, 0x1000, v32
	v_lshl_or_b32 v64, v37, 12, v32
	v_lshrrev_b32_e32 v49, 8, v21
	s_wait_alu 0xfffd
	v_cndmask_b32_e64 v28, 0, 1, vcc_lo
	v_cmp_ne_u32_e32 vcc_lo, 0, v30
	v_lshrrev_b32_e32 v51, 8, v11
	v_bfe_u32 v54, v23, 20, 11
	v_bfe_u32 v56, v27, 20, 11
	v_sub_nc_u32_e32 v67, 0x3f1, v50
	s_wait_alu 0xfffd
	v_cndmask_b32_e64 v30, 0, 1, vcc_lo
	v_cmp_ne_u32_e32 vcc_lo, 0, v34
	v_sub_nc_u32_e32 v68, 0x3f1, v52
	v_med3_i32 v41, v65, 0, 13
	v_and_or_b32 v14, 0xffe, v47, v14
	v_med3_i32 v47, v66, 0, 13
	s_wait_alu 0xfffd
	v_cndmask_b32_e64 v34, 0, 1, vcc_lo
	v_cmp_ne_u32_e32 vcc_lo, 0, v32
	v_or_b32_e32 v65, 0x1000, v8
	v_lshl_or_b32 v66, v40, 12, v8
	v_add_nc_u32_e32 v46, 0xfffffc10, v46
	v_lshrrev_b32_e32 v53, 8, v23
	s_wait_alu 0xfffd
	v_cndmask_b32_e64 v32, 0, 1, vcc_lo
	v_cmp_ne_u32_e32 vcc_lo, 0, v8
	v_lshrrev_b32_e32 v55, 8, v27
	v_bfe_u32 v58, v29, 20, 11
	v_bfe_u32 v60, v31, 20, 11
	v_sub_nc_u32_e32 v69, 0x3f1, v54
	s_wait_alu 0xfffd
	v_cndmask_b32_e64 v8, 0, 1, vcc_lo
	v_cmp_ne_u32_e32 vcc_lo, 0, v12
	v_sub_nc_u32_e32 v70, 0x3f1, v56
	v_and_or_b32 v20, 0xffe, v49, v20
	v_med3_i32 v49, v67, 0, 13
	v_and_or_b32 v10, 0xffe, v51, v10
	v_med3_i32 v51, v68, 0, 13
	v_or_b32_e32 v67, 0x1000, v12
	v_lshl_or_b32 v68, v46, 12, v12
	v_add_nc_u32_e32 v48, 0xfffffc10, v48
	s_wait_alu 0xfffd
	v_cndmask_b32_e64 v12, 0, 1, vcc_lo
	v_cmp_ne_u32_e32 vcc_lo, 0, v14
	v_lshrrev_b32_e32 v57, 8, v29
	v_lshrrev_b32_e32 v59, 8, v31
	v_bfe_u32 v62, v35, 20, 11
	v_sub_nc_u32_e32 v71, 0x3f1, v58
	v_sub_nc_u32_e32 v72, 0x3f1, v60
	v_and_or_b32 v22, 0xffe, v53, v22
	v_med3_i32 v53, v69, 0, 13
	v_and_or_b32 v26, 0xffe, v55, v26
	v_med3_i32 v55, v70, 0, 13
	v_or_b32_e32 v69, 0x1000, v14
	v_lshl_or_b32 v70, v48, 12, v14
	v_add_nc_u32_e32 v50, 0xfffffc10, v50
	s_wait_alu 0xfffd
	v_cndmask_b32_e64 v14, 0, 1, vcc_lo
	v_cmp_ne_u32_e32 vcc_lo, 0, v20
	v_lshrrev_b32_e32 v61, 8, v35
	v_sub_nc_u32_e32 v73, 0x3f1, v62
	v_and_or_b32 v28, 0xffe, v57, v28
	v_med3_i32 v57, v71, 0, 13
	v_and_or_b32 v30, 0xffe, v59, v30
	v_med3_i32 v59, v72, 0, 13
	v_or_b32_e32 v71, 0x1000, v20
	v_lshl_or_b32 v72, v50, 12, v20
	v_add_nc_u32_e32 v52, 0xfffffc10, v52
	s_wait_alu 0xfffd
	v_cndmask_b32_e64 v20, 0, 1, vcc_lo
	v_cmp_ne_u32_e32 vcc_lo, 0, v10
	v_and_or_b32 v34, 0xffe, v61, v34
	v_med3_i32 v61, v73, 0, 13
	v_or_b32_e32 v73, 0x1000, v10
	v_lshl_or_b32 v74, v52, 12, v10
	v_add_nc_u32_e32 v54, 0xfffffc10, v54
	s_wait_alu 0xfffd
	v_cndmask_b32_e64 v10, 0, 1, vcc_lo
	v_cmp_ne_u32_e32 vcc_lo, 0, v22
	v_or_b32_e32 v75, 0x1000, v22
	v_or_b32_e32 v77, 0x1000, v26
	v_lshl_or_b32 v76, v54, 12, v22
	v_add_nc_u32_e32 v56, 0xfffffc10, v56
	s_wait_alu 0xfffd
	v_cndmask_b32_e64 v22, 0, 1, vcc_lo
	v_cmp_ne_u32_e32 vcc_lo, 0, v26
	v_lshrrev_b32_e32 v85, v36, v63
	v_or_b32_e32 v79, 0x1000, v28
	v_lshl_or_b32 v78, v56, 12, v26
	v_add_nc_u32_e32 v58, 0xfffffc10, v58
	s_wait_alu 0xfffd
	v_cndmask_b32_e64 v26, 0, 1, vcc_lo
	v_cmp_ne_u32_e32 vcc_lo, 0, v28
	v_lshrrev_b32_e32 v86, v39, v65
	v_lshlrev_b32_e32 v36, v36, v85
	v_lshl_or_b32 v80, v58, 12, v28
	v_add_nc_u32_e32 v60, 0xfffffc10, v60
	s_wait_alu 0xfffd
	v_cndmask_b32_e64 v28, 0, 1, vcc_lo
	v_cmp_ne_u32_e32 vcc_lo, 0, v30
	v_or_b32_e32 v81, 0x1000, v30
	v_lshrrev_b32_e32 v87, v41, v67
	v_lshl_or_b32 v82, v60, 12, v30
	v_lshlrev_b32_e32 v39, v39, v86
	s_wait_alu 0xfffd
	v_cndmask_b32_e64 v30, 0, 1, vcc_lo
	v_cmp_ne_u32_e32 vcc_lo, v36, v63
	v_lshl_or_b32 v32, v32, 9, 0x7c00
	v_lshrrev_b32_e32 v88, v47, v69
	v_lshlrev_b32_e32 v41, v41, v87
	v_lshrrev_b32_e32 v89, v49, v71
	s_wait_alu 0xfffd
	v_cndmask_b32_e64 v36, 0, 1, vcc_lo
	v_cmp_ne_u32_e32 vcc_lo, v39, v65
	v_lshl_or_b32 v22, v22, 9, 0x7c00
	v_lshlrev_b32_e32 v47, v47, v88
	v_lshl_or_b32 v8, v8, 9, 0x7c00
	v_lshrrev_b32_e32 v90, v51, v73
	s_wait_alu 0xfffd
	v_cndmask_b32_e64 v39, 0, 1, vcc_lo
	v_cmp_ne_u32_e32 vcc_lo, v41, v67
	v_lshlrev_b32_e32 v49, v49, v89
	v_lshl_or_b32 v12, v12, 9, 0x7c00
	v_lshrrev_b32_e32 v91, v53, v75
	v_lshlrev_b32_e32 v51, v51, v90
	s_wait_alu 0xfffd
	v_cndmask_b32_e64 v41, 0, 1, vcc_lo
	v_cmp_ne_u32_e32 vcc_lo, v47, v69
	v_lshl_or_b32 v14, v14, 9, 0x7c00
	v_lshrrev_b32_e32 v92, v55, v77
	v_lshlrev_b32_e32 v53, v53, v91
	v_lshrrev_b32_e32 v93, v57, v79
	s_wait_alu 0xfffd
	v_cndmask_b32_e64 v47, 0, 1, vcc_lo
	v_cmp_ne_u32_e32 vcc_lo, v49, v71
	v_lshlrev_b32_e32 v55, v55, v92
	v_or_b32_e32 v83, 0x1000, v34
	v_lshl_or_b32 v10, v10, 9, 0x7c00
	v_lshrrev_b32_e32 v94, v59, v81
	s_wait_alu 0xfffd
	v_cndmask_b32_e64 v49, 0, 1, vcc_lo
	v_cmp_ne_u32_e32 vcc_lo, v51, v73
	v_lshlrev_b32_e32 v57, v57, v93
	v_lshl_or_b32 v20, v20, 9, 0x7c00
	v_lshrrev_b32_e32 v95, v61, v83
	v_lshlrev_b32_e32 v59, v59, v94
	s_wait_alu 0xfffd
	v_cndmask_b32_e64 v51, 0, 1, vcc_lo
	v_cmp_ne_u32_e32 vcc_lo, v53, v75
	v_lshl_or_b32 v26, v26, 9, 0x7c00
	v_lshlrev_b32_e32 v61, v61, v95
	v_or_b32_e32 v36, v85, v36
	v_or_b32_e32 v39, v86, v39
	s_wait_alu 0xfffd
	v_cndmask_b32_e64 v53, 0, 1, vcc_lo
	v_cmp_ne_u32_e32 vcc_lo, v55, v77
	v_or_b32_e32 v41, v87, v41
	v_or_b32_e32 v47, v88, v47
	;; [unrolled: 1-line block ×4, first 2 shown]
	s_wait_alu 0xfffd
	v_cndmask_b32_e64 v55, 0, 1, vcc_lo
	v_cmp_ne_u32_e32 vcc_lo, v57, v79
	v_or_b32_e32 v53, v91, v53
	v_lshl_or_b32 v30, v30, 9, 0x7c00
	v_lshl_or_b32 v28, v28, 9, 0x7c00
	v_or_b32_e32 v55, v92, v55
	s_wait_alu 0xfffd
	v_cndmask_b32_e64 v57, 0, 1, vcc_lo
	v_cmp_ne_u32_e32 vcc_lo, v59, v81
	v_lshrrev_b32_e32 v9, 16, v9
	v_lshrrev_b32_e32 v13, 16, v13
	;; [unrolled: 1-line block ×3, first 2 shown]
	v_or_b32_e32 v57, v93, v57
	s_wait_alu 0xfffd
	v_cndmask_b32_e64 v59, 0, 1, vcc_lo
	v_cmp_ne_u32_e32 vcc_lo, v61, v83
	v_lshrrev_b32_e32 v15, 16, v15
	v_lshrrev_b32_e32 v11, 16, v11
	;; [unrolled: 1-line block ×3, first 2 shown]
	v_or_b32_e32 v59, v94, v59
	s_wait_alu 0xfffd
	v_cndmask_b32_e64 v61, 0, 1, vcc_lo
	v_cmp_gt_i32_e32 vcc_lo, 1, v37
	v_lshrrev_b32_e32 v27, 16, v27
	v_lshrrev_b32_e32 v29, 16, v29
	v_and_or_b32 v2, 0x1ff, v3, v2
	v_or_b32_e32 v61, v95, v61
	s_wait_alu 0xfffd
	v_cndmask_b32_e32 v36, v64, v36, vcc_lo
	v_cmp_gt_i32_e32 vcc_lo, 1, v40
	v_lshrrev_b32_e32 v31, 16, v31
	v_and_or_b32 v0, 0x1ff, v1, v0
	s_delay_alu instid0(VALU_DEP_4)
	v_and_b32_e32 v63, 7, v36
	s_wait_alu 0xfffd
	v_cndmask_b32_e32 v39, v66, v39, vcc_lo
	v_cmp_gt_i32_e32 vcc_lo, 1, v46
	v_lshrrev_b32_e32 v36, 2, v36
	v_cmp_eq_u32_e64 s0, 3, v63
	s_wait_alu 0xfffd
	v_dual_cndmask_b32 v41, v68, v41 :: v_dual_and_b32 v64, 7, v39
	v_cmp_gt_i32_e32 vcc_lo, 1, v48
	v_lshrrev_b32_e32 v39, 2, v39
	s_delay_alu instid0(VALU_DEP_3) | instskip(NEXT) | instid1(VALU_DEP_4)
	v_cmp_lt_i32_e64 s1, 5, v64
	v_and_b32_e32 v65, 7, v41
	s_wait_alu 0xfffd
	v_cndmask_b32_e32 v47, v70, v47, vcc_lo
	v_cmp_gt_i32_e32 vcc_lo, 1, v50
	v_cmp_eq_u32_e64 s2, 3, v64
	v_lshrrev_b32_e32 v41, 2, v41
	v_cmp_lt_i32_e64 s3, 5, v65
	v_cmp_eq_u32_e64 s4, 3, v65
	s_wait_alu 0xfffd
	v_cndmask_b32_e32 v49, v72, v49, vcc_lo
	v_cmp_gt_i32_e32 vcc_lo, 1, v52
	s_delay_alu instid0(VALU_DEP_2)
	v_and_b32_e32 v67, 7, v49
	s_wait_alu 0xfffd
	v_cndmask_b32_e32 v51, v74, v51, vcc_lo
	v_cmp_gt_i32_e32 vcc_lo, 1, v54
	v_lshrrev_b32_e32 v49, 2, v49
	v_cmp_lt_i32_e64 s7, 5, v67
	v_cmp_eq_u32_e64 s8, 3, v67
	s_wait_alu 0xfffd
	v_cndmask_b32_e32 v53, v76, v53, vcc_lo
	v_cmp_gt_i32_e32 vcc_lo, 1, v56
	s_delay_alu instid0(VALU_DEP_2)
	v_and_b32_e32 v69, 7, v53
	s_wait_alu 0xfffd
	v_cndmask_b32_e32 v55, v78, v55, vcc_lo
	v_cmp_gt_i32_e32 vcc_lo, 1, v58
	v_lshrrev_b32_e32 v53, 2, v53
	v_cmp_lt_i32_e64 s11, 5, v69
	v_cmp_eq_u32_e64 s12, 3, v69
	s_wait_alu 0xfffd
	v_cndmask_b32_e32 v57, v80, v57, vcc_lo
	v_cmp_gt_i32_e32 vcc_lo, 1, v60
	v_add_nc_u32_e32 v62, 0xfffffc10, v62
	s_delay_alu instid0(VALU_DEP_3) | instskip(SKIP_2) | instid1(VALU_DEP_3)
	v_and_b32_e32 v71, 7, v57
	s_wait_alu 0xfffd
	v_cndmask_b32_e32 v59, v82, v59, vcc_lo
	v_lshl_or_b32 v84, v62, 12, v34
	v_cmp_gt_i32_e32 vcc_lo, 1, v62
	v_lshrrev_b32_e32 v57, 2, v57
	v_cmp_lt_i32_e64 s15, 5, v71
	v_cmp_eq_u32_e64 s16, 3, v71
	s_wait_alu 0xfffd
	v_cndmask_b32_e32 v61, v84, v61, vcc_lo
	v_cmp_lt_i32_e32 vcc_lo, 5, v63
	s_or_b32 vcc_lo, s0, vcc_lo
	v_cmp_ne_u32_e64 s0, 0, v2
	s_wait_alu 0xfffe
	v_add_co_ci_u32_e32 v36, vcc_lo, 0, v36, vcc_lo
	s_or_b32 vcc_lo, s2, s1
	s_wait_alu 0xfffe
	v_add_co_ci_u32_e32 v39, vcc_lo, 0, v39, vcc_lo
	s_or_b32 vcc_lo, s4, s3
	v_cndmask_b32_e64 v2, 0, 1, s0
	s_wait_alu 0xfffe
	v_add_co_ci_u32_e32 v41, vcc_lo, 0, v41, vcc_lo
	v_and_b32_e32 v66, 7, v47
	v_lshrrev_b32_e32 v47, 2, v47
	s_delay_alu instid0(VALU_DEP_2) | instskip(SKIP_1) | instid1(VALU_DEP_1)
	v_cmp_lt_i32_e64 s5, 5, v66
	v_cmp_eq_u32_e64 s6, 3, v66
	s_or_b32 vcc_lo, s6, s5
	s_wait_alu 0xfffe
	v_add_co_ci_u32_e32 v47, vcc_lo, 0, v47, vcc_lo
	s_or_b32 vcc_lo, s8, s7
	s_wait_alu 0xfffe
	v_add_co_ci_u32_e32 v49, vcc_lo, 0, v49, vcc_lo
	v_and_b32_e32 v68, 7, v51
	v_lshrrev_b32_e32 v51, 2, v51
	s_delay_alu instid0(VALU_DEP_2) | instskip(SKIP_1) | instid1(VALU_DEP_1)
	v_cmp_lt_i32_e64 s9, 5, v68
	v_cmp_eq_u32_e64 s10, 3, v68
	s_or_b32 vcc_lo, s10, s9
	s_wait_alu 0xfffe
	v_add_co_ci_u32_e32 v51, vcc_lo, 0, v51, vcc_lo
	s_or_b32 vcc_lo, s12, s11
	s_wait_alu 0xfffe
	v_add_co_ci_u32_e32 v53, vcc_lo, 0, v53, vcc_lo
	v_and_b32_e32 v70, 7, v55
	v_lshrrev_b32_e32 v55, 2, v55
	s_delay_alu instid0(VALU_DEP_2) | instskip(SKIP_1) | instid1(VALU_DEP_1)
	v_cmp_lt_i32_e64 s13, 5, v70
	v_cmp_eq_u32_e64 s14, 3, v70
	s_or_b32 vcc_lo, s14, s13
	s_wait_alu 0xfffe
	v_add_co_ci_u32_e32 v55, vcc_lo, 0, v55, vcc_lo
	s_or_b32 vcc_lo, s16, s15
	s_wait_alu 0xfffe
	v_add_co_ci_u32_e32 v57, vcc_lo, 0, v57, vcc_lo
	v_and_b32_e32 v72, 7, v59
	v_lshrrev_b32_e32 v59, 2, v59
	s_delay_alu instid0(VALU_DEP_2) | instskip(SKIP_1) | instid1(VALU_DEP_1)
	v_cmp_lt_i32_e64 s17, 5, v72
	v_cmp_eq_u32_e64 s18, 3, v72
	s_or_b32 vcc_lo, s18, s17
	s_wait_alu 0xfffe
	v_add_co_ci_u32_e32 v59, vcc_lo, 0, v59, vcc_lo
	v_cmp_gt_i32_e32 vcc_lo, 31, v37
	s_wait_alu 0xfffd
	v_cndmask_b32_e32 v36, 0x7c00, v36, vcc_lo
	v_cmp_gt_i32_e32 vcc_lo, 31, v40
	s_wait_alu 0xfffd
	v_cndmask_b32_e32 v39, 0x7c00, v39, vcc_lo
	;; [unrolled: 3-line block ×10, first 2 shown]
	v_cmp_eq_u32_e32 vcc_lo, 0x40f, v37
	s_wait_alu 0xfffd
	v_cndmask_b32_e32 v32, v36, v32, vcc_lo
	v_cmp_eq_u32_e32 vcc_lo, 0x40f, v40
	s_delay_alu instid0(VALU_DEP_2) | instskip(SKIP_3) | instid1(VALU_DEP_2)
	v_and_or_b32 v32, 0x8000, v38, v32
	s_wait_alu 0xfffd
	v_cndmask_b32_e32 v8, v39, v8, vcc_lo
	v_cmp_eq_u32_e32 vcc_lo, 0x40f, v46
	v_and_or_b32 v8, 0x8000, v9, v8
	s_wait_alu 0xfffd
	v_cndmask_b32_e32 v12, v41, v12, vcc_lo
	v_cmp_eq_u32_e32 vcc_lo, 0x40f, v48
	s_delay_alu instid0(VALU_DEP_2) | instskip(SKIP_3) | instid1(VALU_DEP_3)
	v_and_or_b32 v9, 0x8000, v13, v12
	s_wait_alu 0xfffd
	v_cndmask_b32_e32 v14, v47, v14, vcc_lo
	v_cmp_eq_u32_e32 vcc_lo, 0x40f, v50
	v_and_b32_e32 v9, 0xffff, v9
	s_delay_alu instid0(VALU_DEP_3)
	v_and_or_b32 v12, 0x8000, v15, v14
	s_wait_alu 0xfffd
	v_cndmask_b32_e32 v20, v49, v20, vcc_lo
	v_cmp_eq_u32_e32 vcc_lo, 0x40f, v52
	v_and_b32_e32 v14, 0xffff, v32
	v_lshl_or_b32 v9, v12, 16, v9
	s_delay_alu instid0(VALU_DEP_4)
	v_and_or_b32 v13, 0x8000, v21, v20
	s_wait_alu 0xfffd
	v_cndmask_b32_e32 v10, v51, v10, vcc_lo
	v_cmp_eq_u32_e32 vcc_lo, 0x40f, v54
	v_lshl_or_b32 v8, v8, 16, v14
	v_and_b32_e32 v14, 7, v61
	v_and_b32_e32 v13, 0xffff, v13
	v_and_or_b32 v10, 0x8000, v11, v10
	s_wait_alu 0xfffd
	v_cndmask_b32_e32 v22, v53, v22, vcc_lo
	v_cmp_eq_u32_e32 vcc_lo, 0x40f, v56
	v_cmp_eq_u32_e64 s0, 3, v14
	s_wait_loadcnt 0x3
	v_lshrrev_b32_e32 v21, 16, v7
	v_lshl_or_b32 v10, v10, 16, v13
	v_and_or_b32 v11, 0x8000, v23, v22
	s_wait_alu 0xfffd
	v_cndmask_b32_e32 v26, v55, v26, vcc_lo
	v_cmp_eq_u32_e32 vcc_lo, 0x40f, v58
	s_clause 0x2
	global_store_b32 v[18:19], v8, off
	global_store_b32 v[42:43], v9, off
	;; [unrolled: 1-line block ×3, first 2 shown]
	ds_load_2addr_b32 v[8:9], v17 offset0:79 offset1:200
	v_and_b32_e32 v11, 0xffff, v11
	v_and_or_b32 v15, 0x8000, v27, v26
	s_wait_alu 0xfffd
	v_cndmask_b32_e32 v28, v57, v28, vcc_lo
	v_cmp_eq_u32_e32 vcc_lo, 0x40f, v60
	v_lshrrev_b32_e32 v25, 8, v1
	v_bfe_u32 v26, v1, 20, 11
	v_lshl_or_b32 v13, v15, 16, v11
	v_cvt_f64_f32_e32 v[10:11], v16
	s_wait_alu 0xfffd
	v_cndmask_b32_e32 v30, v59, v30, vcc_lo
	v_and_or_b32 v12, 0x8000, v29, v28
	v_cmp_lt_i32_e32 vcc_lo, 5, v14
	global_store_b32 v[44:45], v13, off
	v_bfe_u32 v16, v3, 20, 11
	v_and_or_b32 v13, 0x8000, v31, v30
	v_and_b32_e32 v12, 0xffff, v12
	v_lshrrev_b32_e32 v15, 8, v3
	s_or_b32 vcc_lo, s0, vcc_lo
	global_load_b32 v20, v33, s[20:21] offset:5324
	v_lshrrev_b32_e32 v3, 16, v3
	v_lshl_or_b32 v17, v13, 16, v12
	v_lshrrev_b32_e32 v12, 2, v61
	v_sub_nc_u32_e32 v13, 0x3f1, v16
	v_and_or_b32 v2, 0xffe, v15, v2
	s_wait_dscnt 0x0
	v_lshrrev_b32_e32 v19, 16, v8
	v_add_nc_u32_e32 v16, 0xfffffc10, v16
	s_wait_alu 0xfffe
	v_add_co_ci_u32_e32 v14, vcc_lo, 0, v12, vcc_lo
	v_add_co_u32 v12, vcc_lo, v44, s22
	v_med3_i32 v18, v13, 0, 13
	s_wait_alu 0xfffd
	v_add_co_ci_u32_e32 v13, vcc_lo, s23, v45, vcc_lo
	v_or_b32_e32 v15, 0x1000, v2
	v_cmp_gt_i32_e32 vcc_lo, 31, v62
	global_store_b32 v[12:13], v17, off
	v_lshrrev_b32_e32 v23, v18, v15
	s_wait_alu 0xfffd
	v_cndmask_b32_e32 v22, 0x7c00, v14, vcc_lo
	v_cmp_ne_u32_e32 vcc_lo, 0, v34
	v_mul_f16_e32 v14, v19, v21
	v_lshlrev_b32_e32 v18, v18, v23
	s_wait_alu 0xfffd
	v_cndmask_b32_e64 v24, 0, 1, vcc_lo
	v_cmp_ne_u32_e32 vcc_lo, 0, v0
	v_fmac_f16_e32 v14, v8, v7
	v_mul_f64_e32 v[10:11], s[24:25], v[10:11]
	v_mul_f16_e32 v8, v8, v21
	v_lshl_or_b32 v24, v24, 9, 0x7c00
	s_wait_alu 0xfffd
	v_cndmask_b32_e64 v0, 0, 1, vcc_lo
	v_cmp_ne_u32_e32 vcc_lo, v18, v15
	v_cvt_f32_f16_e32 v14, v14
	v_fma_f16 v7, v7, v19, -v8
	v_add_nc_u32_e32 v19, 0xfffffc10, v26
	v_and_or_b32 v0, 0xffe, v25, v0
	s_wait_alu 0xfffd
	v_cndmask_b32_e64 v18, 0, 1, vcc_lo
	v_cvt_f64_f32_e32 v[14:15], v14
	v_sub_nc_u32_e32 v25, 0x3f1, v26
	v_cmp_gt_i32_e32 vcc_lo, 1, v16
	v_or_b32_e32 v27, 0x1000, v0
	v_or_b32_e32 v18, v23, v18
	v_lshl_or_b32 v23, v16, 12, v2
	v_med3_i32 v25, v25, 0, 13
	v_cvt_f32_f16_e32 v7, v7
	s_wait_alu 0xfffd
	s_delay_alu instid0(VALU_DEP_3) | instskip(SKIP_2) | instid1(VALU_DEP_3)
	v_cndmask_b32_e32 v18, v23, v18, vcc_lo
	v_cmp_eq_u32_e32 vcc_lo, 0x40f, v62
	v_lshrrev_b32_e32 v23, 16, v35
	v_and_b32_e32 v28, 7, v18
	s_wait_alu 0xfffd
	v_cndmask_b32_e32 v22, v22, v24, vcc_lo
	v_lshrrev_b32_e32 v24, v25, v27
	v_lshrrev_b32_e32 v8, 2, v18
	v_cmp_lt_i32_e32 vcc_lo, 5, v28
	v_cmp_eq_u32_e64 s0, 3, v28
	s_delay_alu instid0(VALU_DEP_4) | instskip(SKIP_2) | instid1(VALU_DEP_4)
	v_lshlrev_b32_e32 v21, v25, v24
	v_and_or_b32 v17, 0x8000, v23, v22
	v_lshl_or_b32 v22, v19, 12, v0
	s_or_b32 vcc_lo, s0, vcc_lo
	s_delay_alu instid0(VALU_DEP_3)
	v_cmp_ne_u32_e64 s1, v21, v27
	s_wait_alu 0xfffe
	v_add_co_ci_u32_e32 v21, vcc_lo, 0, v8, vcc_lo
	v_cmp_ne_u32_e32 vcc_lo, 0, v2
	v_and_or_b32 v10, 0x1ff, v11, v10
	s_wait_alu 0xf1ff
	v_cndmask_b32_e64 v18, 0, 1, s1
	v_cvt_f64_f32_e32 v[7:8], v7
	v_bfe_u32 v23, v11, 20, 11
	s_wait_alu 0xfffd
	v_cndmask_b32_e64 v2, 0, 1, vcc_lo
	v_cmp_gt_i32_e32 vcc_lo, 1, v19
	v_or_b32_e32 v18, v24, v18
	v_mul_f64_e32 v[14:15], s[24:25], v[14:15]
	v_cmp_eq_u32_e64 s1, 0x40f, v16
	v_lshl_or_b32 v2, v2, 9, 0x7c00
	s_wait_alu 0xfffd
	v_dual_cndmask_b32 v18, v22, v18 :: v_dual_and_b32 v17, 0xffff, v17
	v_cmp_ne_u32_e32 vcc_lo, 0, v10
	v_lshrrev_b32_e32 v22, 8, v11
	s_delay_alu instid0(VALU_DEP_3)
	v_and_b32_e32 v24, 7, v18
	s_wait_alu 0xfffd
	v_cndmask_b32_e64 v10, 0, 1, vcc_lo
	v_cmp_gt_i32_e32 vcc_lo, 31, v16
	v_lshrrev_b32_e32 v16, 2, v18
	v_cmp_eq_u32_e64 s0, 3, v24
	s_delay_alu instid0(VALU_DEP_4)
	v_and_or_b32 v10, 0xffe, v22, v10
	v_sub_nc_u32_e32 v22, 0x3f1, v23
	s_wait_alu 0xfffd
	v_cndmask_b32_e32 v21, 0x7c00, v21, vcc_lo
	v_cmp_lt_i32_e32 vcc_lo, 5, v24
	v_add_nc_u32_e32 v23, 0xfffffc10, v23
	v_or_b32_e32 v24, 0x1000, v10
	v_med3_i32 v22, v22, 0, 13
	s_wait_alu 0xf1ff
	v_cndmask_b32_e64 v2, v21, v2, s1
	s_or_b32 vcc_lo, s0, vcc_lo
	s_wait_alu 0xfffe
	v_add_co_ci_u32_e32 v16, vcc_lo, 0, v16, vcc_lo
	v_lshrrev_b32_e32 v18, v22, v24
	v_cmp_gt_i32_e32 vcc_lo, 31, v19
	v_and_or_b32 v21, 0x8000, v3, v2
	s_delay_alu instid0(VALU_DEP_3)
	v_lshlrev_b32_e32 v2, v22, v18
	s_wait_alu 0xfffd
	v_cndmask_b32_e32 v16, 0x7c00, v16, vcc_lo
	v_cmp_ne_u32_e32 vcc_lo, 0, v0
	v_lshl_or_b32 v17, v21, 16, v17
	v_and_or_b32 v14, 0x1ff, v15, v14
	s_wait_alu 0xfffd
	v_cndmask_b32_e64 v0, 0, 1, vcc_lo
	v_cmp_ne_u32_e32 vcc_lo, v2, v24
	v_mul_f64_e32 v[2:3], s[24:25], v[7:8]
	v_lshrrev_b32_e32 v7, 16, v9
	s_wait_loadcnt 0x3
	v_lshrrev_b32_e32 v8, 16, v4
	v_lshl_or_b32 v0, v0, 9, 0x7c00
	s_wait_alu 0xfffd
	v_cndmask_b32_e64 v22, 0, 1, vcc_lo
	v_cmp_gt_i32_e32 vcc_lo, 1, v23
	v_bfe_u32 v25, v15, 20, 11
	v_mul_f16_e32 v24, v7, v8
	v_mul_f16_e32 v8, v9, v8
	v_or_b32_e32 v18, v18, v22
	v_lshl_or_b32 v22, v23, 12, v10
	s_delay_alu instid0(VALU_DEP_4) | instskip(NEXT) | instid1(VALU_DEP_4)
	v_fmac_f16_e32 v24, v9, v4
	v_fma_f16 v4, v4, v7, -v8
	s_wait_alu 0xfffd
	s_delay_alu instid0(VALU_DEP_3)
	v_cndmask_b32_e32 v18, v22, v18, vcc_lo
	v_cmp_ne_u32_e32 vcc_lo, 0, v14
	v_lshrrev_b32_e32 v22, 8, v15
	v_cvt_f32_f16_e32 v4, v4
	v_lshrrev_b32_e32 v15, 16, v15
	s_wait_alu 0xfffd
	v_cndmask_b32_e64 v14, 0, 1, vcc_lo
	v_cmp_eq_u32_e32 vcc_lo, 0x40f, v19
	v_and_b32_e32 v19, 7, v18
	v_lshrrev_b32_e32 v18, 2, v18
	s_delay_alu instid0(VALU_DEP_4)
	v_and_or_b32 v14, 0xffe, v22, v14
	s_wait_alu 0xfffd
	v_cndmask_b32_e32 v16, v16, v0, vcc_lo
	v_cvt_f32_f16_e32 v0, v24
	v_lshrrev_b32_e32 v24, 16, v1
	v_sub_nc_u32_e32 v22, 0x3f1, v25
	v_cmp_lt_i32_e32 vcc_lo, 5, v19
	v_cmp_eq_u32_e64 s0, 3, v19
	v_cvt_f64_f32_e32 v[0:1], v0
	v_or_b32_e32 v26, 0x1000, v14
	v_med3_i32 v22, v22, 0, 13
	v_and_or_b32 v16, 0x8000, v24, v16
	s_or_b32 vcc_lo, s0, vcc_lo
	v_and_or_b32 v2, 0x1ff, v3, v2
	s_wait_alu 0xfffe
	v_add_co_ci_u32_e32 v18, vcc_lo, 0, v18, vcc_lo
	v_lshrrev_b32_e32 v19, v22, v26
	v_cmp_ne_u32_e32 vcc_lo, 0, v10
	v_bfe_u32 v24, v3, 20, 11
	v_lshrrev_b32_e32 v9, 8, v3
	v_and_b32_e32 v16, 0xffff, v16
	v_lshlrev_b32_e32 v21, v22, v19
	s_wait_alu 0xfffd
	v_cndmask_b32_e64 v10, 0, 1, vcc_lo
	v_cmp_gt_i32_e32 vcc_lo, 31, v23
	v_add_nc_u32_e32 v22, 0xfffffc10, v25
	v_sub_nc_u32_e32 v7, 0x3f1, v24
	s_delay_alu instid0(VALU_DEP_4)
	v_lshl_or_b32 v10, v10, 9, 0x7c00
	s_wait_alu 0xfffd
	v_cndmask_b32_e32 v18, 0x7c00, v18, vcc_lo
	v_cmp_ne_u32_e32 vcc_lo, v21, v26
	v_med3_i32 v25, v7, 0, 13
	v_cvt_f64_f32_e32 v[7:8], v4
	s_wait_alu 0xfffd
	v_cndmask_b32_e64 v21, 0, 1, vcc_lo
	v_cmp_ne_u32_e32 vcc_lo, 0, v2
	s_delay_alu instid0(VALU_DEP_2) | instskip(SKIP_4) | instid1(VALU_DEP_3)
	v_or_b32_e32 v19, v19, v21
	s_wait_alu 0xfffd
	v_cndmask_b32_e64 v2, 0, 1, vcc_lo
	v_lshl_or_b32 v21, v22, 12, v14
	v_cmp_gt_i32_e32 vcc_lo, 1, v22
	v_and_or_b32 v2, 0xffe, v9, v2
	v_add_nc_u32_e32 v9, 0x1000, v33
	s_wait_alu 0xfffd
	v_cndmask_b32_e32 v19, v21, v19, vcc_lo
	v_cmp_eq_u32_e32 vcc_lo, 0x40f, v23
	v_mul_f64_e32 v[0:1], s[24:25], v[0:1]
	v_or_b32_e32 v21, 0x1000, v2
	s_wait_alu 0xfffd
	v_dual_cndmask_b32 v4, v18, v10 :: v_dual_and_b32 v23, 7, v19
	ds_load_2addr_b32 v[9:10], v9 offset0:65 offset1:186
	v_lshrrev_b32_e32 v26, v25, v21
	v_lshrrev_b32_e32 v18, 16, v11
	v_add_co_u32 v11, vcc_lo, v12, s22
	s_wait_alu 0xfffd
	v_add_co_ci_u32_e32 v12, vcc_lo, s23, v13, vcc_lo
	v_lshlrev_b32_e32 v13, v25, v26
	v_cmp_lt_i32_e32 vcc_lo, 5, v23
	v_cmp_eq_u32_e64 s0, 3, v23
	v_and_or_b32 v4, 0x8000, v18, v4
	v_lshrrev_b32_e32 v18, 2, v19
	v_cmp_ne_u32_e64 s1, v13, v21
	v_add_nc_u32_e32 v19, 0xfffffc10, v24
	s_or_b32 vcc_lo, s0, vcc_lo
	s_wait_loadcnt 0x2
	v_lshrrev_b32_e32 v23, 16, v5
	s_wait_alu 0xfffe
	v_add_co_ci_u32_e32 v18, vcc_lo, 0, v18, vcc_lo
	v_cndmask_b32_e64 v13, 0, 1, s1
	v_cmp_ne_u32_e32 vcc_lo, 0, v14
	s_wait_dscnt 0x0
	v_lshrrev_b32_e32 v21, 16, v9
	v_lshl_or_b32 v24, v19, 12, v2
	v_mul_f64_e32 v[7:8], s[24:25], v[7:8]
	v_or_b32_e32 v13, v26, v13
	s_wait_alu 0xfffd
	v_cndmask_b32_e64 v14, 0, 1, vcc_lo
	v_mul_f16_e32 v25, v21, v23
	v_cmp_gt_i32_e32 vcc_lo, 1, v19
	v_lshl_or_b32 v16, v4, 16, v16
	s_delay_alu instid0(VALU_DEP_4) | instskip(NEXT) | instid1(VALU_DEP_4)
	v_lshl_or_b32 v14, v14, 9, 0x7c00
	v_fmac_f16_e32 v25, v9, v5
	s_wait_alu 0xfffd
	v_cndmask_b32_e32 v24, v24, v13, vcc_lo
	v_cmp_gt_i32_e32 vcc_lo, 31, v22
	v_and_or_b32 v0, 0x1ff, v1, v0
	v_bfe_u32 v26, v1, 20, 11
	v_cvt_f32_f16_e32 v25, v25
	v_mul_f16_e32 v9, v9, v23
	s_wait_alu 0xfffd
	v_dual_cndmask_b32 v13, 0x7c00, v18 :: v_dual_and_b32 v18, 7, v24
	v_cmp_eq_u32_e32 vcc_lo, 0x40f, v22
	v_cmp_ne_u32_e64 s0, 0, v0
	v_fma_f16 v5, v5, v21, -v9
	s_wait_alu 0xfffd
	v_cndmask_b32_e32 v22, v13, v14, vcc_lo
	v_cvt_f64_f32_e32 v[13:14], v25
	v_cmp_lt_i32_e32 vcc_lo, 5, v18
	s_wait_alu 0xf1ff
	v_cndmask_b32_e64 v0, 0, 1, s0
	v_cmp_eq_u32_e64 s0, 3, v18
	v_lshrrev_b32_e32 v25, 8, v1
	v_lshrrev_b32_e32 v18, 2, v24
	v_sub_nc_u32_e32 v24, 0x3f1, v26
	v_and_or_b32 v15, 0x8000, v15, v22
	s_or_b32 vcc_lo, s0, vcc_lo
	v_and_or_b32 v0, 0xffe, v25, v0
	s_wait_alu 0xfffe
	v_add_co_ci_u32_e32 v18, vcc_lo, 0, v18, vcc_lo
	v_cmp_ne_u32_e32 vcc_lo, 0, v2
	v_med3_i32 v24, v24, 0, 13
	v_or_b32_e32 v25, 0x1000, v0
	v_and_or_b32 v7, 0x1ff, v8, v7
	v_lshrrev_b32_e32 v9, 8, v8
	s_wait_alu 0xfffd
	v_cndmask_b32_e64 v2, 0, 1, vcc_lo
	v_cmp_gt_i32_e32 vcc_lo, 31, v19
	v_lshrrev_b32_e32 v4, v24, v25
	v_bfe_u32 v21, v8, 20, 11
	v_cvt_f32_f16_e32 v5, v5
	v_lshl_or_b32 v2, v2, 9, 0x7c00
	s_wait_alu 0xfffd
	v_cndmask_b32_e32 v18, 0x7c00, v18, vcc_lo
	v_cmp_eq_u32_e32 vcc_lo, 0x40f, v19
	v_lshlrev_b32_e32 v22, v24, v4
	v_lshrrev_b32_e32 v19, 16, v3
	v_and_b32_e32 v15, 0xffff, v15
	v_lshrrev_b32_e32 v1, 16, v1
	s_wait_alu 0xfffd
	v_cndmask_b32_e32 v18, v18, v2, vcc_lo
	v_add_co_u32 v2, vcc_lo, v11, s22
	s_wait_alu 0xfffd
	v_add_co_ci_u32_e32 v3, vcc_lo, s23, v12, vcc_lo
	v_cmp_ne_u32_e32 vcc_lo, v22, v25
	v_and_or_b32 v18, 0x8000, v19, v18
	v_add_nc_u32_e32 v22, 0xfffffc10, v26
	global_store_b32 v[11:12], v17, off
	global_store_b32 v[2:3], v16, off
	v_mul_f64_e32 v[13:14], s[24:25], v[13:14]
	s_wait_alu 0xfffd
	v_cndmask_b32_e64 v19, 0, 1, vcc_lo
	v_cmp_ne_u32_e32 vcc_lo, 0, v7
	v_lshrrev_b32_e32 v16, 16, v10
	s_wait_loadcnt 0x1
	v_lshrrev_b32_e32 v17, 16, v6
	v_lshl_or_b32 v15, v18, 16, v15
	v_or_b32_e32 v4, v4, v19
	s_wait_alu 0xfffd
	v_cndmask_b32_e64 v7, 0, 1, vcc_lo
	v_lshl_or_b32 v19, v22, 12, v0
	v_cmp_gt_i32_e32 vcc_lo, 1, v22
	v_add_nc_u32_e32 v18, 0xfffffc10, v21
	v_lshrrev_b32_e32 v8, 16, v8
	v_and_or_b32 v7, 0xffe, v9, v7
	v_sub_nc_u32_e32 v9, 0x3f1, v21
	s_wait_alu 0xfffd
	v_cndmask_b32_e32 v19, v19, v4, vcc_lo
	v_cvt_f64_f32_e32 v[4:5], v5
	v_add_co_u32 v2, vcc_lo, v2, s22
	v_or_b32_e32 v23, 0x1000, v7
	v_med3_i32 v9, v9, 0, 13
	v_and_b32_e32 v11, 7, v19
	s_wait_alu 0xfffd
	v_add_co_ci_u32_e32 v3, vcc_lo, s23, v3, vcc_lo
	s_delay_alu instid0(VALU_DEP_3) | instskip(NEXT) | instid1(VALU_DEP_3)
	v_lshrrev_b32_e32 v12, v9, v23
	v_cmp_lt_i32_e32 vcc_lo, 5, v11
	v_cmp_eq_u32_e64 s0, 3, v11
	v_lshrrev_b32_e32 v11, 2, v19
	v_mul_f16_e32 v19, v16, v17
	v_lshlrev_b32_e32 v9, v9, v12
	v_mul_f16_e32 v17, v10, v17
	s_or_b32 vcc_lo, s0, vcc_lo
	s_wait_alu 0xfffe
	v_add_co_ci_u32_e32 v21, vcc_lo, 0, v11, vcc_lo
	v_cmp_ne_u32_e64 s1, v9, v23
	v_cmp_ne_u32_e32 vcc_lo, 0, v0
	v_fmac_f16_e32 v19, v10, v6
	v_lshl_or_b32 v11, v18, 12, v7
	v_lshrrev_b32_e32 v23, 8, v14
	s_wait_alu 0xf1ff
	v_cndmask_b32_e64 v9, 0, 1, s1
	s_wait_alu 0xfffd
	v_cndmask_b32_e64 v0, 0, 1, vcc_lo
	v_cmp_gt_i32_e32 vcc_lo, 1, v18
	v_cmp_eq_u32_e64 s1, 0x40f, v22
	v_fma_f16 v6, v6, v16, -v17
	v_or_b32_e32 v9, v12, v9
	v_and_or_b32 v12, 0x1ff, v14, v13
	v_cvt_f32_f16_e32 v13, v19
	v_lshl_or_b32 v0, v0, 9, 0x7c00
	v_cvt_f32_f16_e32 v6, v6
	s_wait_alu 0xfffd
	v_cndmask_b32_e32 v9, v11, v9, vcc_lo
	v_cmp_ne_u32_e32 vcc_lo, 0, v12
	v_cvt_f64_f32_e32 v[11:12], v13
	v_bfe_u32 v13, v14, 20, 11
	v_mul_f64_e32 v[4:5], s[24:25], v[4:5]
	v_and_b32_e32 v24, 7, v9
	s_wait_alu 0xfffd
	v_cndmask_b32_e64 v19, 0, 1, vcc_lo
	v_cmp_gt_i32_e32 vcc_lo, 31, v22
	v_lshrrev_b32_e32 v9, 2, v9
	v_cmp_eq_u32_e64 s0, 3, v24
	s_delay_alu instid0(VALU_DEP_4)
	v_and_or_b32 v19, 0xffe, v23, v19
	v_sub_nc_u32_e32 v23, 0x3f1, v13
	s_wait_alu 0xfffd
	v_cndmask_b32_e32 v21, 0x7c00, v21, vcc_lo
	v_cmp_lt_i32_e32 vcc_lo, 5, v24
	v_add_nc_u32_e32 v13, 0xfffffc10, v13
	v_or_b32_e32 v24, 0x1000, v19
	v_med3_i32 v23, v23, 0, 13
	s_wait_alu 0xf1ff
	v_cndmask_b32_e64 v0, v21, v0, s1
	s_or_b32 vcc_lo, s0, vcc_lo
	s_wait_alu 0xfffe
	v_add_co_ci_u32_e32 v9, vcc_lo, 0, v9, vcc_lo
	v_lshrrev_b32_e32 v21, v23, v24
	v_cmp_ne_u32_e32 vcc_lo, 0, v7
	v_and_or_b32 v22, 0x8000, v1, v0
	s_delay_alu instid0(VALU_DEP_3) | instskip(SKIP_4) | instid1(VALU_DEP_3)
	v_lshlrev_b32_e32 v0, v23, v21
	s_wait_alu 0xfffd
	v_cndmask_b32_e64 v7, 0, 1, vcc_lo
	v_cmp_gt_i32_e32 vcc_lo, 31, v18
	v_and_b32_e32 v22, 0xffff, v22
	v_lshl_or_b32 v7, v7, 9, 0x7c00
	s_wait_alu 0xfffd
	v_cndmask_b32_e32 v1, 0x7c00, v9, vcc_lo
	v_cmp_ne_u32_e32 vcc_lo, v0, v24
	v_add_nc_u32_e32 v9, 0x1400, v33
	s_wait_alu 0xfffd
	v_cndmask_b32_e64 v23, 0, 1, vcc_lo
	v_cmp_eq_u32_e32 vcc_lo, 0x40f, v18
	v_and_or_b32 v4, 0x1ff, v5, v4
	v_bfe_u32 v16, v5, 20, 11
	s_delay_alu instid0(VALU_DEP_4)
	v_or_b32_e32 v18, v21, v23
	s_wait_alu 0xfffd
	v_cndmask_b32_e32 v7, v1, v7, vcc_lo
	ds_load_2addr_b32 v[0:1], v9 offset0:51 offset1:172
	v_mul_f64_e32 v[9:10], s[24:25], v[11:12]
	v_lshl_or_b32 v21, v13, 12, v19
	v_cmp_gt_i32_e32 vcc_lo, 1, v13
	v_lshrrev_b32_e32 v12, 8, v5
	v_and_or_b32 v8, 0x8000, v8, v7
	v_cvt_f64_f32_e32 v[6:7], v6
	s_wait_alu 0xfffd
	v_cndmask_b32_e32 v11, v21, v18, vcc_lo
	v_cmp_ne_u32_e32 vcc_lo, 0, v4
	s_wait_loadcnt 0x0
	v_lshrrev_b32_e32 v21, 16, v20
	s_delay_alu instid0(VALU_DEP_3) | instskip(SKIP_2) | instid1(VALU_DEP_2)
	v_and_b32_e32 v17, 7, v11
	s_wait_alu 0xfffd
	v_cndmask_b32_e64 v4, 0, 1, vcc_lo
	v_cmp_lt_i32_e32 vcc_lo, 5, v17
	s_delay_alu instid0(VALU_DEP_2)
	v_and_or_b32 v4, 0xffe, v12, v4
	v_sub_nc_u32_e32 v12, 0x3f1, v16
	s_wait_dscnt 0x0
	v_lshrrev_b32_e32 v18, 16, v0
	v_cmp_eq_u32_e64 s0, 3, v17
	v_lshl_or_b32 v17, v8, 16, v22
	v_lshrrev_b32_e32 v8, 2, v11
	v_or_b32_e32 v23, 0x1000, v4
	v_med3_i32 v12, v12, 0, 13
	v_mul_f16_e32 v24, v18, v21
	s_or_b32 vcc_lo, s0, vcc_lo
	v_add_nc_u32_e32 v16, 0xfffffc10, v16
	s_wait_alu 0xfffe
	v_add_co_ci_u32_e32 v8, vcc_lo, 0, v8, vcc_lo
	v_lshrrev_b32_e32 v11, v12, v23
	v_fmac_f16_e32 v24, v0, v20
	v_cmp_ne_u32_e32 vcc_lo, 0, v19
	v_mul_f16_e32 v0, v0, v21
	s_delay_alu instid0(VALU_DEP_4) | instskip(NEXT) | instid1(VALU_DEP_4)
	v_lshlrev_b32_e32 v12, v12, v11
	v_cvt_f32_f16_e32 v22, v24
	s_wait_alu 0xfffd
	v_cndmask_b32_e64 v19, 0, 1, vcc_lo
	v_cmp_gt_i32_e32 vcc_lo, 31, v13
	v_and_or_b32 v25, 0x1ff, v10, v9
	v_fma_f16 v0, v20, v18, -v0
	v_mul_f64_e32 v[6:7], s[24:25], v[6:7]
	s_wait_alu 0xfffd
	v_cndmask_b32_e32 v24, 0x7c00, v8, vcc_lo
	v_cvt_f64_f32_e32 v[8:9], v22
	v_cmp_ne_u32_e32 vcc_lo, v12, v23
	v_lshrrev_b32_e32 v22, 8, v10
	v_bfe_u32 v23, v10, 20, 11
	v_lshl_or_b32 v19, v19, 9, 0x7c00
	v_cvt_f32_f16_e32 v0, v0
	s_wait_alu 0xfffd
	v_cndmask_b32_e64 v12, 0, 1, vcc_lo
	v_cmp_ne_u32_e32 vcc_lo, 0, v25
	v_sub_nc_u32_e32 v20, 0x3f1, v23
	v_lshrrev_b32_e32 v10, 16, v10
	s_delay_alu instid0(VALU_DEP_4)
	v_or_b32_e32 v11, v11, v12
	s_wait_alu 0xfffd
	v_cndmask_b32_e64 v21, 0, 1, vcc_lo
	v_lshl_or_b32 v12, v16, 12, v4
	v_cmp_gt_i32_e32 vcc_lo, 1, v16
	v_med3_i32 v20, v20, 0, 13
	s_delay_alu instid0(VALU_DEP_4)
	v_and_or_b32 v18, 0xffe, v22, v21
	s_wait_alu 0xfffd
	v_cndmask_b32_e32 v21, v12, v11, vcc_lo
	v_cmp_eq_u32_e32 vcc_lo, 0x40f, v13
	v_cvt_f64_f32_e32 v[11:12], v0
	v_or_b32_e32 v22, 0x1000, v18
	s_wait_alu 0xfffd
	v_cndmask_b32_e32 v0, v24, v19, vcc_lo
	v_and_b32_e32 v24, 7, v21
	v_lshrrev_b32_e32 v19, 16, v14
	v_add_co_u32 v13, vcc_lo, v2, s22
	v_lshrrev_b32_e32 v25, v20, v22
	s_wait_alu 0xfffd
	v_add_co_ci_u32_e32 v14, vcc_lo, s23, v3, vcc_lo
	v_cmp_lt_i32_e32 vcc_lo, 5, v24
	v_cmp_eq_u32_e64 s0, 3, v24
	v_and_or_b32 v0, 0x8000, v19, v0
	v_lshrrev_b32_e32 v19, 2, v21
	v_lshlrev_b32_e32 v20, v20, v25
	v_mul_f64_e32 v[8:9], s[24:25], v[8:9]
	s_or_b32 vcc_lo, s0, vcc_lo
	v_add_nc_u32_e32 v21, 0xfffffc10, v23
	s_wait_alu 0xfffe
	v_add_co_ci_u32_e32 v19, vcc_lo, 0, v19, vcc_lo
	v_cmp_ne_u32_e64 s1, v20, v22
	v_cmp_ne_u32_e32 vcc_lo, 0, v4
	v_lshl_or_b32 v22, v21, 12, v18
	v_and_or_b32 v6, 0x1ff, v7, v6
	v_and_b32_e32 v0, 0xffff, v0
	s_wait_alu 0xf1ff
	v_cndmask_b32_e64 v20, 0, 1, s1
	s_wait_alu 0xfffd
	v_cndmask_b32_e64 v4, 0, 1, vcc_lo
	v_cmp_gt_i32_e32 vcc_lo, 31, v16
	v_lshrrev_b32_e32 v23, 8, v7
	v_or_b32_e32 v20, v25, v20
	s_delay_alu instid0(VALU_DEP_4)
	v_lshl_or_b32 v4, v4, 9, 0x7c00
	s_wait_alu 0xfffd
	v_cndmask_b32_e32 v19, 0x7c00, v19, vcc_lo
	v_cmp_gt_i32_e32 vcc_lo, 1, v21
	s_wait_alu 0xfffd
	v_cndmask_b32_e32 v20, v22, v20, vcc_lo
	v_cmp_eq_u32_e32 vcc_lo, 0x40f, v16
	s_delay_alu instid0(VALU_DEP_2)
	v_and_b32_e32 v22, 7, v20
	s_wait_alu 0xfffd
	v_cndmask_b32_e32 v16, v19, v4, vcc_lo
	v_lshrrev_b32_e32 v19, 16, v5
	v_cmp_ne_u32_e32 vcc_lo, 0, v6
	v_mul_f64_e32 v[4:5], s[24:25], v[11:12]
	v_bfe_u32 v11, v7, 20, 11
	v_cmp_eq_u32_e64 s0, 3, v22
	v_and_or_b32 v12, 0x8000, v19, v16
	s_wait_alu 0xfffd
	v_cndmask_b32_e64 v6, 0, 1, vcc_lo
	v_cmp_lt_i32_e32 vcc_lo, 5, v22
	v_sub_nc_u32_e32 v16, 0x3f1, v11
	v_and_or_b32 v8, 0x1ff, v9, v8
	v_lshl_or_b32 v0, v12, 16, v0
	v_lshrrev_b32_e32 v12, 2, v20
	v_and_or_b32 v6, 0xffe, v23, v6
	s_or_b32 vcc_lo, s0, vcc_lo
	v_med3_i32 v16, v16, 0, 13
	v_lshrrev_b32_e32 v22, 8, v9
	s_wait_alu 0xfffe
	v_add_co_ci_u32_e32 v12, vcc_lo, 0, v12, vcc_lo
	v_or_b32_e32 v19, 0x1000, v6
	v_cmp_ne_u32_e32 vcc_lo, 0, v18
	v_bfe_u32 v23, v9, 20, 11
	v_add_nc_u32_e32 v11, 0xfffffc10, v11
	v_lshrrev_b32_e32 v7, 16, v7
	v_lshrrev_b32_e32 v20, v16, v19
	s_wait_alu 0xfffd
	v_cndmask_b32_e64 v18, 0, 1, vcc_lo
	v_cmp_gt_i32_e32 vcc_lo, 31, v21
	v_lshrrev_b32_e32 v9, 16, v9
	v_lshlrev_b32_e32 v16, v16, v20
	s_delay_alu instid0(VALU_DEP_4)
	v_lshl_or_b32 v18, v18, 9, 0x7c00
	s_wait_alu 0xfffd
	v_cndmask_b32_e32 v12, 0x7c00, v12, vcc_lo
	v_cmp_ne_u32_e32 vcc_lo, 0, v8
	s_wait_alu 0xfffd
	v_cndmask_b32_e64 v8, 0, 1, vcc_lo
	v_cmp_ne_u32_e32 vcc_lo, v16, v19
	v_sub_nc_u32_e32 v19, 0x3f1, v23
	v_and_or_b32 v4, 0x1ff, v5, v4
	s_delay_alu instid0(VALU_DEP_4)
	v_and_or_b32 v8, 0xffe, v22, v8
	s_wait_alu 0xfffd
	v_cndmask_b32_e64 v16, 0, 1, vcc_lo
	v_cmp_eq_u32_e32 vcc_lo, 0x40f, v21
	v_med3_i32 v19, v19, 0, 13
	v_lshrrev_b32_e32 v21, 8, v5
	v_bfe_u32 v22, v5, 20, 11
	v_or_b32_e32 v16, v20, v16
	s_wait_alu 0xfffd
	v_cndmask_b32_e32 v12, v12, v18, vcc_lo
	v_lshl_or_b32 v18, v11, 12, v6
	v_or_b32_e32 v20, 0x1000, v8
	v_cmp_gt_i32_e32 vcc_lo, 1, v11
	s_delay_alu instid0(VALU_DEP_4)
	v_and_or_b32 v10, 0x8000, v10, v12
	v_sub_nc_u32_e32 v12, 0x3f1, v22
	s_wait_alu 0xfffd
	v_cndmask_b32_e32 v16, v18, v16, vcc_lo
	v_lshrrev_b32_e32 v18, v19, v20
	v_cmp_ne_u32_e32 vcc_lo, 0, v4
	v_med3_i32 v12, v12, 0, 13
	s_delay_alu instid0(VALU_DEP_4) | instskip(NEXT) | instid1(VALU_DEP_4)
	v_and_b32_e32 v24, 7, v16
	v_lshlrev_b32_e32 v19, v19, v18
	s_wait_alu 0xfffd
	v_cndmask_b32_e64 v4, 0, 1, vcc_lo
	v_lshrrev_b32_e32 v16, 2, v16
	v_cmp_lt_i32_e32 vcc_lo, 5, v24
	v_cmp_ne_u32_e64 s0, v19, v20
	s_delay_alu instid0(VALU_DEP_4) | instskip(SKIP_2) | instid1(VALU_DEP_3)
	v_and_or_b32 v4, 0xffe, v21, v4
	v_add_nc_u32_e32 v21, 0xfffffc10, v23
	s_wait_alu 0xf1ff
	v_cndmask_b32_e64 v19, 0, 1, s0
	v_cmp_eq_u32_e64 s0, 3, v24
	v_or_b32_e32 v20, 0x1000, v4
	v_lshl_or_b32 v23, v21, 12, v8
	s_delay_alu instid0(VALU_DEP_4) | instskip(NEXT) | instid1(VALU_DEP_4)
	v_or_b32_e32 v18, v18, v19
	s_or_b32 vcc_lo, s0, vcc_lo
	s_delay_alu instid0(VALU_DEP_3) | instskip(SKIP_3) | instid1(VALU_DEP_3)
	v_lshrrev_b32_e32 v19, v12, v20
	s_wait_alu 0xfffe
	v_add_co_ci_u32_e32 v16, vcc_lo, 0, v16, vcc_lo
	v_cmp_gt_i32_e32 vcc_lo, 1, v21
	v_lshlrev_b32_e32 v12, v12, v19
	s_wait_alu 0xfffd
	v_cndmask_b32_e32 v18, v23, v18, vcc_lo
	v_cmp_ne_u32_e32 vcc_lo, 0, v6
	s_wait_alu 0xfffd
	v_cndmask_b32_e64 v6, 0, 1, vcc_lo
	v_cmp_ne_u32_e32 vcc_lo, v12, v20
	v_add_nc_u32_e32 v20, 0xfffffc10, v22
	v_and_b32_e32 v22, 7, v18
	s_delay_alu instid0(VALU_DEP_4)
	v_lshl_or_b32 v6, v6, 9, 0x7c00
	s_wait_alu 0xfffd
	v_cndmask_b32_e64 v12, 0, 1, vcc_lo
	v_cmp_gt_i32_e32 vcc_lo, 31, v11
	v_cmp_gt_i32_e64 s1, 1, v20
	v_cmp_eq_u32_e64 s0, 3, v22
	s_delay_alu instid0(VALU_DEP_4)
	v_or_b32_e32 v12, v19, v12
	v_lshl_or_b32 v19, v20, 12, v4
	s_wait_alu 0xfffd
	v_cndmask_b32_e32 v16, 0x7c00, v16, vcc_lo
	v_cmp_lt_i32_e32 vcc_lo, 5, v22
	s_wait_alu 0xf1ff
	v_cndmask_b32_e64 v12, v19, v12, s1
	v_cmp_eq_u32_e64 s1, 0x40f, v11
	v_lshrrev_b32_e32 v11, 2, v18
	s_or_b32 vcc_lo, s0, vcc_lo
	s_delay_alu instid0(VALU_DEP_2) | instskip(SKIP_1) | instid1(VALU_DEP_2)
	v_cndmask_b32_e64 v6, v16, v6, s1
	s_wait_alu 0xfffe
	v_add_co_ci_u32_e32 v11, vcc_lo, 0, v11, vcc_lo
	v_and_b32_e32 v16, 7, v12
	v_cmp_ne_u32_e32 vcc_lo, 0, v8
	v_lshrrev_b32_e32 v12, 2, v12
	v_cmp_gt_i32_e64 s1, 31, v21
	v_and_or_b32 v6, 0x8000, v7, v6
	v_cmp_eq_u32_e64 s0, 3, v16
	s_wait_alu 0xfffd
	v_cndmask_b32_e64 v8, 0, 1, vcc_lo
	v_cmp_lt_i32_e32 vcc_lo, 5, v16
	s_wait_alu 0xf1ff
	v_cndmask_b32_e64 v11, 0x7c00, v11, s1
	v_and_b32_e32 v7, 0xffff, v10
	v_lshrrev_b32_e32 v10, 16, v5
	v_lshl_or_b32 v8, v8, 9, 0x7c00
	s_or_b32 vcc_lo, s0, vcc_lo
	s_wait_alu 0xfffe
	v_add_co_ci_u32_e32 v12, vcc_lo, 0, v12, vcc_lo
	v_cmp_ne_u32_e32 vcc_lo, 0, v4
	s_wait_alu 0xfffd
	v_cndmask_b32_e64 v4, 0, 1, vcc_lo
	v_cmp_eq_u32_e32 vcc_lo, 0x40f, v21
	s_delay_alu instid0(VALU_DEP_2) | instskip(SKIP_3) | instid1(VALU_DEP_2)
	v_lshl_or_b32 v4, v4, 9, 0x7c00
	s_wait_alu 0xfffd
	v_cndmask_b32_e32 v8, v11, v8, vcc_lo
	v_cmp_gt_i32_e32 vcc_lo, 31, v20
	v_and_or_b32 v8, 0x8000, v9, v8
	s_wait_alu 0xfffd
	v_cndmask_b32_e32 v11, 0x7c00, v12, vcc_lo
	v_cmp_eq_u32_e32 vcc_lo, 0x40f, v20
	s_delay_alu instid0(VALU_DEP_3) | instskip(SKIP_1) | instid1(VALU_DEP_3)
	v_and_b32_e32 v8, 0xffff, v8
	s_wait_alu 0xfffd
	v_cndmask_b32_e32 v9, v11, v4, vcc_lo
	v_add_co_u32 v4, vcc_lo, v13, s22
	s_wait_alu 0xfffd
	v_add_co_ci_u32_e32 v5, vcc_lo, s23, v14, vcc_lo
	v_lshl_or_b32 v11, v6, 16, v7
	v_and_or_b32 v9, 0x8000, v10, v9
	v_add_co_u32 v6, vcc_lo, v4, s22
	s_wait_alu 0xfffd
	v_add_co_ci_u32_e32 v7, vcc_lo, s23, v5, vcc_lo
	s_delay_alu instid0(VALU_DEP_3) | instskip(NEXT) | instid1(VALU_DEP_3)
	v_lshl_or_b32 v10, v9, 16, v8
	v_add_co_u32 v8, vcc_lo, v6, s22
	s_wait_alu 0xfffd
	s_delay_alu instid0(VALU_DEP_3)
	v_add_co_ci_u32_e32 v9, vcc_lo, s23, v7, vcc_lo
	global_store_b32 v[2:3], v15, off
	global_store_b32 v[13:14], v17, off
	;; [unrolled: 1-line block ×5, first 2 shown]
	global_load_b32 v0, v33, s[20:21] offset:5808
	v_lshrrev_b32_e32 v2, 16, v1
	s_wait_loadcnt 0x0
	v_lshrrev_b32_e32 v3, 16, v0
	s_delay_alu instid0(VALU_DEP_1) | instskip(SKIP_1) | instid1(VALU_DEP_2)
	v_mul_f16_e32 v4, v2, v3
	v_mul_f16_e32 v3, v1, v3
	v_fmac_f16_e32 v4, v1, v0
	s_delay_alu instid0(VALU_DEP_2) | instskip(NEXT) | instid1(VALU_DEP_2)
	v_fma_f16 v0, v0, v2, -v3
	v_cvt_f32_f16_e32 v1, v4
	s_delay_alu instid0(VALU_DEP_2) | instskip(NEXT) | instid1(VALU_DEP_2)
	v_cvt_f32_f16_e32 v2, v0
	v_cvt_f64_f32_e32 v[0:1], v1
	s_delay_alu instid0(VALU_DEP_2) | instskip(NEXT) | instid1(VALU_DEP_2)
	v_cvt_f64_f32_e32 v[2:3], v2
	v_mul_f64_e32 v[0:1], s[24:25], v[0:1]
	s_delay_alu instid0(VALU_DEP_2) | instskip(NEXT) | instid1(VALU_DEP_2)
	v_mul_f64_e32 v[2:3], s[24:25], v[2:3]
	v_and_or_b32 v0, 0x1ff, v1, v0
	s_delay_alu instid0(VALU_DEP_2)
	v_and_or_b32 v2, 0x1ff, v3, v2
	v_lshrrev_b32_e32 v4, 8, v1
	v_bfe_u32 v5, v1, 20, 11
	v_lshrrev_b32_e32 v6, 8, v3
	v_cmp_ne_u32_e32 vcc_lo, 0, v0
	v_bfe_u32 v7, v3, 20, 11
	v_lshrrev_b32_e32 v1, 16, v1
	v_lshrrev_b32_e32 v3, 16, v3
	s_wait_alu 0xfffd
	v_cndmask_b32_e64 v0, 0, 1, vcc_lo
	v_cmp_ne_u32_e32 vcc_lo, 0, v2
	s_delay_alu instid0(VALU_DEP_2)
	v_and_or_b32 v0, 0xffe, v4, v0
	s_wait_alu 0xfffd
	v_cndmask_b32_e64 v2, 0, 1, vcc_lo
	v_sub_nc_u32_e32 v4, 0x3f1, v5
	v_add_nc_u32_e32 v5, 0xfffffc10, v5
	v_or_b32_e32 v10, 0x1000, v0
	s_delay_alu instid0(VALU_DEP_4) | instskip(SKIP_3) | instid1(VALU_DEP_4)
	v_and_or_b32 v2, 0xffe, v6, v2
	v_sub_nc_u32_e32 v6, 0x3f1, v7
	v_med3_i32 v4, v4, 0, 13
	v_add_nc_u32_e32 v7, 0xfffffc10, v7
	v_or_b32_e32 v11, 0x1000, v2
	s_delay_alu instid0(VALU_DEP_4) | instskip(NEXT) | instid1(VALU_DEP_4)
	v_med3_i32 v6, v6, 0, 13
	v_lshrrev_b32_e32 v12, v4, v10
	s_delay_alu instid0(VALU_DEP_2) | instskip(NEXT) | instid1(VALU_DEP_2)
	v_lshrrev_b32_e32 v13, v6, v11
	v_lshlrev_b32_e32 v4, v4, v12
	s_delay_alu instid0(VALU_DEP_2) | instskip(NEXT) | instid1(VALU_DEP_2)
	v_lshlrev_b32_e32 v6, v6, v13
	v_cmp_ne_u32_e32 vcc_lo, v4, v10
	v_lshl_or_b32 v10, v5, 12, v0
	s_wait_alu 0xfffd
	v_cndmask_b32_e64 v4, 0, 1, vcc_lo
	v_cmp_ne_u32_e32 vcc_lo, v6, v11
	v_lshl_or_b32 v11, v7, 12, v2
	s_delay_alu instid0(VALU_DEP_3) | instskip(SKIP_3) | instid1(VALU_DEP_2)
	v_or_b32_e32 v4, v12, v4
	s_wait_alu 0xfffd
	v_cndmask_b32_e64 v6, 0, 1, vcc_lo
	v_cmp_gt_i32_e32 vcc_lo, 1, v5
	v_or_b32_e32 v6, v13, v6
	s_wait_alu 0xfffd
	v_cndmask_b32_e32 v4, v10, v4, vcc_lo
	v_cmp_gt_i32_e32 vcc_lo, 1, v7
	s_delay_alu instid0(VALU_DEP_2) | instskip(SKIP_3) | instid1(VALU_DEP_3)
	v_and_b32_e32 v10, 7, v4
	s_wait_alu 0xfffd
	v_cndmask_b32_e32 v6, v11, v6, vcc_lo
	v_lshrrev_b32_e32 v4, 2, v4
	v_cmp_lt_i32_e32 vcc_lo, 5, v10
	v_cmp_eq_u32_e64 s0, 3, v10
	s_delay_alu instid0(VALU_DEP_4) | instskip(SKIP_1) | instid1(VALU_DEP_3)
	v_and_b32_e32 v11, 7, v6
	v_lshrrev_b32_e32 v6, 2, v6
	s_or_b32 vcc_lo, s0, vcc_lo
	s_delay_alu instid0(VALU_DEP_2)
	v_cmp_lt_i32_e64 s1, 5, v11
	s_wait_alu 0xfffe
	v_add_co_ci_u32_e32 v4, vcc_lo, 0, v4, vcc_lo
	v_cmp_eq_u32_e64 s2, 3, v11
	v_cmp_ne_u32_e32 vcc_lo, 0, v0
	s_wait_alu 0xfffd
	v_cndmask_b32_e64 v0, 0, 1, vcc_lo
	s_delay_alu instid0(VALU_DEP_3)
	s_or_b32 vcc_lo, s2, s1
	s_wait_alu 0xfffe
	v_add_co_ci_u32_e32 v6, vcc_lo, 0, v6, vcc_lo
	v_cmp_ne_u32_e32 vcc_lo, 0, v2
	v_lshl_or_b32 v0, v0, 9, 0x7c00
	s_wait_alu 0xfffd
	v_cndmask_b32_e64 v2, 0, 1, vcc_lo
	v_cmp_gt_i32_e32 vcc_lo, 31, v5
	s_delay_alu instid0(VALU_DEP_2)
	v_lshl_or_b32 v2, v2, 9, 0x7c00
	s_wait_alu 0xfffd
	v_cndmask_b32_e32 v4, 0x7c00, v4, vcc_lo
	v_cmp_gt_i32_e32 vcc_lo, 31, v7
	s_wait_alu 0xfffd
	v_cndmask_b32_e32 v6, 0x7c00, v6, vcc_lo
	v_cmp_eq_u32_e32 vcc_lo, 0x40f, v5
	s_wait_alu 0xfffd
	v_cndmask_b32_e32 v0, v4, v0, vcc_lo
	v_cmp_eq_u32_e32 vcc_lo, 0x40f, v7
	s_delay_alu instid0(VALU_DEP_2) | instskip(SKIP_2) | instid1(VALU_DEP_2)
	v_and_or_b32 v0, 0x8000, v1, v0
	s_wait_alu 0xfffd
	v_cndmask_b32_e32 v2, v6, v2, vcc_lo
	v_and_b32_e32 v0, 0xffff, v0
	s_delay_alu instid0(VALU_DEP_2) | instskip(NEXT) | instid1(VALU_DEP_1)
	v_and_or_b32 v1, 0x8000, v3, v2
	v_lshl_or_b32 v2, v1, 16, v0
	v_add_co_u32 v0, vcc_lo, v8, s22
	s_wait_alu 0xfffd
	v_add_co_ci_u32_e32 v1, vcc_lo, s23, v9, vcc_lo
	global_store_b32 v[0:1], v2, off
.LBB0_15:
	s_nop 0
	s_sendmsg sendmsg(MSG_DEALLOC_VGPRS)
	s_endpgm
	.section	.rodata,"a",@progbits
	.p2align	6, 0x0
	.amdhsa_kernel bluestein_single_back_len1573_dim1_half_op_CI_CI
		.amdhsa_group_segment_fixed_size 6292
		.amdhsa_private_segment_fixed_size 0
		.amdhsa_kernarg_size 104
		.amdhsa_user_sgpr_count 2
		.amdhsa_user_sgpr_dispatch_ptr 0
		.amdhsa_user_sgpr_queue_ptr 0
		.amdhsa_user_sgpr_kernarg_segment_ptr 1
		.amdhsa_user_sgpr_dispatch_id 0
		.amdhsa_user_sgpr_private_segment_size 0
		.amdhsa_wavefront_size32 1
		.amdhsa_uses_dynamic_stack 0
		.amdhsa_enable_private_segment 0
		.amdhsa_system_sgpr_workgroup_id_x 1
		.amdhsa_system_sgpr_workgroup_id_y 0
		.amdhsa_system_sgpr_workgroup_id_z 0
		.amdhsa_system_sgpr_workgroup_info 0
		.amdhsa_system_vgpr_workitem_id 0
		.amdhsa_next_free_vgpr 172
		.amdhsa_next_free_sgpr 26
		.amdhsa_reserve_vcc 1
		.amdhsa_float_round_mode_32 0
		.amdhsa_float_round_mode_16_64 0
		.amdhsa_float_denorm_mode_32 3
		.amdhsa_float_denorm_mode_16_64 3
		.amdhsa_fp16_overflow 0
		.amdhsa_workgroup_processor_mode 1
		.amdhsa_memory_ordered 1
		.amdhsa_forward_progress 0
		.amdhsa_round_robin_scheduling 0
		.amdhsa_exception_fp_ieee_invalid_op 0
		.amdhsa_exception_fp_denorm_src 0
		.amdhsa_exception_fp_ieee_div_zero 0
		.amdhsa_exception_fp_ieee_overflow 0
		.amdhsa_exception_fp_ieee_underflow 0
		.amdhsa_exception_fp_ieee_inexact 0
		.amdhsa_exception_int_div_zero 0
	.end_amdhsa_kernel
	.text
.Lfunc_end0:
	.size	bluestein_single_back_len1573_dim1_half_op_CI_CI, .Lfunc_end0-bluestein_single_back_len1573_dim1_half_op_CI_CI
                                        ; -- End function
	.section	.AMDGPU.csdata,"",@progbits
; Kernel info:
; codeLenInByte = 28248
; NumSgprs: 28
; NumVgprs: 172
; ScratchSize: 0
; MemoryBound: 0
; FloatMode: 240
; IeeeMode: 1
; LDSByteSize: 6292 bytes/workgroup (compile time only)
; SGPRBlocks: 3
; VGPRBlocks: 21
; NumSGPRsForWavesPerEU: 28
; NumVGPRsForWavesPerEU: 172
; Occupancy: 8
; WaveLimiterHint : 1
; COMPUTE_PGM_RSRC2:SCRATCH_EN: 0
; COMPUTE_PGM_RSRC2:USER_SGPR: 2
; COMPUTE_PGM_RSRC2:TRAP_HANDLER: 0
; COMPUTE_PGM_RSRC2:TGID_X_EN: 1
; COMPUTE_PGM_RSRC2:TGID_Y_EN: 0
; COMPUTE_PGM_RSRC2:TGID_Z_EN: 0
; COMPUTE_PGM_RSRC2:TIDIG_COMP_CNT: 0
	.text
	.p2alignl 7, 3214868480
	.fill 96, 4, 3214868480
	.type	__hip_cuid_dfbea8c7f97ac4ae,@object ; @__hip_cuid_dfbea8c7f97ac4ae
	.section	.bss,"aw",@nobits
	.globl	__hip_cuid_dfbea8c7f97ac4ae
__hip_cuid_dfbea8c7f97ac4ae:
	.byte	0                               ; 0x0
	.size	__hip_cuid_dfbea8c7f97ac4ae, 1

	.ident	"AMD clang version 19.0.0git (https://github.com/RadeonOpenCompute/llvm-project roc-6.4.0 25133 c7fe45cf4b819c5991fe208aaa96edf142730f1d)"
	.section	".note.GNU-stack","",@progbits
	.addrsig
	.addrsig_sym __hip_cuid_dfbea8c7f97ac4ae
	.amdgpu_metadata
---
amdhsa.kernels:
  - .args:
      - .actual_access:  read_only
        .address_space:  global
        .offset:         0
        .size:           8
        .value_kind:     global_buffer
      - .actual_access:  read_only
        .address_space:  global
        .offset:         8
        .size:           8
        .value_kind:     global_buffer
      - .actual_access:  read_only
        .address_space:  global
        .offset:         16
        .size:           8
        .value_kind:     global_buffer
      - .actual_access:  read_only
        .address_space:  global
        .offset:         24
        .size:           8
        .value_kind:     global_buffer
      - .actual_access:  read_only
        .address_space:  global
        .offset:         32
        .size:           8
        .value_kind:     global_buffer
      - .offset:         40
        .size:           8
        .value_kind:     by_value
      - .address_space:  global
        .offset:         48
        .size:           8
        .value_kind:     global_buffer
      - .address_space:  global
        .offset:         56
        .size:           8
        .value_kind:     global_buffer
      - .address_space:  global
        .offset:         64
        .size:           8
        .value_kind:     global_buffer
      - .address_space:  global
        .offset:         72
        .size:           8
        .value_kind:     global_buffer
      - .offset:         80
        .size:           4
        .value_kind:     by_value
      - .address_space:  global
        .offset:         88
        .size:           8
        .value_kind:     global_buffer
      - .address_space:  global
        .offset:         96
        .size:           8
        .value_kind:     global_buffer
    .group_segment_fixed_size: 6292
    .kernarg_segment_align: 8
    .kernarg_segment_size: 104
    .language:       OpenCL C
    .language_version:
      - 2
      - 0
    .max_flat_workgroup_size: 143
    .name:           bluestein_single_back_len1573_dim1_half_op_CI_CI
    .private_segment_fixed_size: 0
    .sgpr_count:     28
    .sgpr_spill_count: 0
    .symbol:         bluestein_single_back_len1573_dim1_half_op_CI_CI.kd
    .uniform_work_group_size: 1
    .uses_dynamic_stack: false
    .vgpr_count:     172
    .vgpr_spill_count: 0
    .wavefront_size: 32
    .workgroup_processor_mode: 1
amdhsa.target:   amdgcn-amd-amdhsa--gfx1201
amdhsa.version:
  - 1
  - 2
...

	.end_amdgpu_metadata
